;; amdgpu-corpus repo=pytorch/pytorch kind=compiled arch=gfx950 opt=O3
	.amdgcn_target "amdgcn-amd-amdhsa--gfx950"
	.amdhsa_code_object_version 6
	.section	.text._ZN2at6native12_GLOBAL__N_125multi_tensor_apply_kernelINS1_18TensorListMetadataILi3EEENS1_19FusedSgdMathFunctorIdLi3EEEJddPfddbbbS7_S7_EEEvT_T0_DpT1_,"axG",@progbits,_ZN2at6native12_GLOBAL__N_125multi_tensor_apply_kernelINS1_18TensorListMetadataILi3EEENS1_19FusedSgdMathFunctorIdLi3EEEJddPfddbbbS7_S7_EEEvT_T0_DpT1_,comdat
	.globl	_ZN2at6native12_GLOBAL__N_125multi_tensor_apply_kernelINS1_18TensorListMetadataILi3EEENS1_19FusedSgdMathFunctorIdLi3EEEJddPfddbbbS7_S7_EEEvT_T0_DpT1_ ; -- Begin function _ZN2at6native12_GLOBAL__N_125multi_tensor_apply_kernelINS1_18TensorListMetadataILi3EEENS1_19FusedSgdMathFunctorIdLi3EEEJddPfddbbbS7_S7_EEEvT_T0_DpT1_
	.p2align	8
	.type	_ZN2at6native12_GLOBAL__N_125multi_tensor_apply_kernelINS1_18TensorListMetadataILi3EEENS1_19FusedSgdMathFunctorIdLi3EEEJddPfddbbbS7_S7_EEEvT_T0_DpT1_,@function
_ZN2at6native12_GLOBAL__N_125multi_tensor_apply_kernelINS1_18TensorListMetadataILi3EEENS1_19FusedSgdMathFunctorIdLi3EEEJddPfddbbbS7_S7_EEEvT_T0_DpT1_: ; @_ZN2at6native12_GLOBAL__N_125multi_tensor_apply_kernelINS1_18TensorListMetadataILi3EEENS1_19FusedSgdMathFunctorIdLi3EEEJddPfddbbbS7_S7_EEEvT_T0_DpT1_
; %bb.0:
	s_load_dwordx4 s[28:31], s[0:1], 0xc80
	s_waitcnt lgkmcnt(0)
	s_cmp_eq_u64 s[30:31], 0
	s_cselect_b64 s[4:5], -1, 0
	s_and_b64 vcc, exec, s[4:5]
	s_cbranch_vccnz .LBB0_2
; %bb.1:
	s_load_dword s3, s[30:31], 0x0
	s_waitcnt lgkmcnt(0)
	v_cmp_neq_f32_e64 s[4:5], s3, 1.0
.LBB0_2:
	s_andn2_b64 vcc, exec, s[4:5]
	s_cbranch_vccnz .LBB0_74
; %bb.3:
	v_mov_b32_e32 v1, s2
	global_load_ubyte v1, v1, s[0:1] offset:1536
	s_add_u32 s3, s0, s2
	s_mul_hi_u32 s4, s2, 3
	s_mul_i32 s2, s2, 3
	s_addc_u32 s5, s1, 0
	s_load_dwordx8 s[20:27], s[0:1], 0xc50
	s_add_u32 s2, s3, s2
	s_addc_u32 s3, s5, s4
	s_load_dwordx2 s[36:37], s[0:1], 0xc70
	s_load_dword s16, s[2:3], 0x740
	s_mov_b32 s9, 0
	s_waitcnt lgkmcnt(0)
	s_cmp_eq_u64 s[24:25], 0
	v_mov_b64_e32 v[24:25], s[26:27]
	s_waitcnt vmcnt(0)
	v_readfirstlane_b32 s8, v1
	s_cbranch_scc1 .LBB0_5
; %bb.4:
	s_load_dword s2, s[24:25], 0x0
	s_waitcnt lgkmcnt(0)
	v_cvt_f64_f32_e32 v[24:25], s2
.LBB0_5:
	s_load_dword s4, s[0:1], 0xc78
	s_mov_b32 s41, s9
	s_waitcnt lgkmcnt(0)
	s_bitcmp1_b32 s4, 0
	s_cselect_b64 s[6:7], -1, 0
	s_bitcmp1_b32 s4, 8
	s_cselect_b64 s[2:3], -1, 0
	;; [unrolled: 2-line block ×3, first 2 shown]
	s_and_b32 s8, s8, 0xff
	s_lshl_b32 s8, s8, 3
	s_load_dwordx2 s[18:19], s[0:1], s8 offset:0x480
	s_ashr_i32 s17, s16, 31
	s_lshl_b64 s[24:25], s[16:17], 16
	s_load_dwordx2 s[10:11], s[0:1], s8 offset:0x0
	s_load_dwordx2 s[12:13], s[0:1], s8 offset:0x180
	;; [unrolled: 1-line block ×3, first 2 shown]
	s_waitcnt lgkmcnt(0)
	s_sub_u32 s24, s18, s24
	s_subb_u32 s25, s19, s25
	s_lshl_b64 s[38:39], s[16:17], 19
	s_add_u32 s26, s10, s38
	s_addc_u32 s27, s11, s39
	s_and_b32 s8, s26, 31
	s_add_u32 s30, s12, s38
	s_addc_u32 s31, s13, s39
	s_and_b32 s16, s30, 31
	;; [unrolled: 3-line block ×3, first 2 shown]
	s_and_b32 s18, s18, 3
	s_mov_b32 s19, s9
	s_mov_b32 s17, s9
	s_or_b64 s[18:19], s[18:19], s[40:41]
	s_or_b64 s[16:17], s[18:19], s[16:17]
	;; [unrolled: 1-line block ×3, first 2 shown]
	s_cmp_eq_u64 s[8:9], 0
	s_mov_b64 s[8:9], -1
	s_cbranch_scc1 .LBB0_60
; %bb.6:
	v_cmp_lt_i64_e64 s[8:9], s[24:25], 1
	s_and_b64 vcc, exec, s[8:9]
	s_cbranch_vccnz .LBB0_59
; %bb.7:
	s_load_dword s16, s[0:1], 0xc9c
	v_mov_b64_e32 v[2:3], 0x10000
	v_cmp_lt_i64_e32 vcc, s[24:25], v[2:3]
	s_and_b64 s[8:9], vcc, exec
	s_cselect_b32 s41, s25, 0
	s_cselect_b32 s40, s24, 0x10000
	s_waitcnt lgkmcnt(0)
	s_and_b32 s16, s16, 0xffff
	s_mov_b32 s17, 0
	s_lshl_b32 s18, s16, 1
	v_mov_b32_e32 v1, 0
	s_mul_i32 s48, s16, 3
	s_mov_b32 s49, s17
	s_cmp_lg_u64 s[28:29], 0
	s_cselect_b64 s[44:45], -1, 0
	v_lshlrev_b32_e32 v18, 3, v0
	v_mov_b32_e32 v19, v1
	v_lshl_add_u64 v[16:17], s[48:49], 0, v[0:1]
	s_lshl_b32 s48, s16, 4
	v_lshl_add_u64 v[28:29], v[0:1], 0, s[16:17]
	s_mov_b32 s19, s17
	v_mad_u64_u32 v[14:15], s[50:51], s16, 24, v[18:19]
	v_lshl_add_u64 v[22:23], s[48:49], 0, v[18:19]
	v_lshlrev_b32_e32 v34, 3, v28
	v_mov_b32_e32 v35, v1
	s_mov_b64 s[42:43], 0
	v_cmp_neq_f64_e64 s[8:9], s[20:21], 0
	v_add_f64 v[2:3], -s[36:37], 1.0
	s_lshl_b32 s33, s16, 2
	v_lshl_add_u64 v[4:5], s[10:11], 0, v[18:19]
	s_lshl_b32 s46, s16, 5
	s_mov_b32 s47, s17
	v_lshl_add_u64 v[6:7], s[12:13], 0, v[18:19]
	v_lshl_add_u64 v[8:9], s[14:15], 0, v[18:19]
	;; [unrolled: 1-line block ×12, first 2 shown]
	s_branch .LBB0_9
.LBB0_8:                                ;   in Loop: Header=BB0_9 Depth=1
	s_or_b64 exec, exec, s[10:11]
	s_add_u32 s42, s42, s33
	s_addc_u32 s43, s43, 0
	v_mov_b64_e32 v[36:37], s[40:41]
	v_cmp_lt_i64_e32 vcc, s[42:43], v[36:37]
	v_lshl_add_u64 v[4:5], v[4:5], 0, s[46:47]
	v_lshl_add_u64 v[6:7], v[6:7], 0, s[46:47]
	;; [unrolled: 1-line block ×12, first 2 shown]
	s_cbranch_vccz .LBB0_59
.LBB0_9:                                ; =>This Inner Loop Header: Depth=1
	v_lshl_add_u64 v[36:37], v[0:1], 0, s[42:43]
	v_cmp_gt_i64_e64 s[10:11], s[40:41], v[36:37]
	v_mov_b64_e32 v[52:53], 0
	v_mov_b64_e32 v[36:37], 0
	v_mov_b64_e32 v[44:45], 0
	s_and_saveexec_b64 s[12:13], s[10:11]
	s_cbranch_execz .LBB0_11
; %bb.10:                               ;   in Loop: Header=BB0_9 Depth=1
	v_lshl_add_u64 v[40:41], v[4:5], 0, s[38:39]
	v_lshl_add_u64 v[38:39], v[6:7], 0, s[38:39]
	global_load_dwordx2 v[44:45], v[40:41], off
	global_load_dwordx2 v[36:37], v[38:39], off
.LBB0_11:                               ;   in Loop: Header=BB0_9 Depth=1
	s_or_b64 exec, exec, s[12:13]
	s_and_saveexec_b64 s[12:13], s[10:11]
	s_cbranch_execz .LBB0_13
; %bb.12:                               ;   in Loop: Header=BB0_9 Depth=1
	v_lshl_add_u64 v[38:39], v[8:9], 0, s[38:39]
	global_load_dwordx2 v[52:53], v[38:39], off
.LBB0_13:                               ;   in Loop: Header=BB0_9 Depth=1
	s_or_b64 exec, exec, s[12:13]
	v_lshl_add_u64 v[38:39], v[28:29], 0, s[42:43]
	v_cmp_gt_i64_e64 s[12:13], s[40:41], v[38:39]
	v_mov_b64_e32 v[54:55], 0
	v_mov_b64_e32 v[38:39], 0
	v_mov_b64_e32 v[46:47], 0
	s_and_saveexec_b64 s[14:15], s[12:13]
	s_cbranch_execz .LBB0_15
; %bb.14:                               ;   in Loop: Header=BB0_9 Depth=1
	v_lshl_add_u64 v[42:43], v[30:31], 0, s[38:39]
	v_lshl_add_u64 v[40:41], v[32:33], 0, s[38:39]
	global_load_dwordx2 v[46:47], v[42:43], off
	global_load_dwordx2 v[38:39], v[40:41], off
.LBB0_15:                               ;   in Loop: Header=BB0_9 Depth=1
	s_or_b64 exec, exec, s[14:15]
	s_and_saveexec_b64 s[14:15], s[12:13]
	s_cbranch_execz .LBB0_17
; %bb.16:                               ;   in Loop: Header=BB0_9 Depth=1
	v_lshl_add_u64 v[40:41], v[34:35], 0, s[38:39]
	global_load_dwordx2 v[54:55], v[40:41], off
.LBB0_17:                               ;   in Loop: Header=BB0_9 Depth=1
	s_or_b64 exec, exec, s[14:15]
	;; [unrolled: 21-line block ×4, first 2 shown]
	v_cndmask_b32_e64 v60, 0, 1, s[44:45]
	v_cmp_ne_u32_e64 s[18:19], 1, v60
	s_andn2_b64 vcc, exec, s[44:45]
	s_cbranch_vccnz .LBB0_27
; %bb.26:                               ;   in Loop: Header=BB0_9 Depth=1
	s_load_dword s48, s[28:29], 0x0
	s_waitcnt lgkmcnt(0)
	v_cvt_f64_f32_e32 v[60:61], s48
	s_waitcnt vmcnt(0)
	v_div_scale_f64 v[62:63], s[48:49], v[60:61], v[60:61], v[36:37]
	v_rcp_f64_e32 v[64:65], v[62:63]
	v_div_scale_f64 v[66:67], vcc, v[36:37], v[60:61], v[36:37]
	v_fma_f64 v[68:69], -v[62:63], v[64:65], 1.0
	v_fmac_f64_e32 v[64:65], v[64:65], v[68:69]
	v_fma_f64 v[68:69], -v[62:63], v[64:65], 1.0
	v_fmac_f64_e32 v[64:65], v[64:65], v[68:69]
	v_mul_f64 v[68:69], v[66:67], v[64:65]
	v_fma_f64 v[62:63], -v[62:63], v[68:69], v[66:67]
	v_div_fmas_f64 v[62:63], v[62:63], v[64:65], v[68:69]
	v_div_fixup_f64 v[36:37], v[62:63], v[60:61], v[36:37]
.LBB0_27:                               ;   in Loop: Header=BB0_9 Depth=1
	s_and_b64 vcc, exec, s[18:19]
	s_cbranch_vccnz .LBB0_29
; %bb.28:                               ;   in Loop: Header=BB0_9 Depth=1
	s_load_dword s48, s[28:29], 0x0
	s_waitcnt lgkmcnt(0)
	v_cvt_f64_f32_e32 v[60:61], s48
	s_waitcnt vmcnt(0)
	v_div_scale_f64 v[62:63], s[48:49], v[60:61], v[60:61], v[38:39]
	v_rcp_f64_e32 v[64:65], v[62:63]
	v_div_scale_f64 v[66:67], vcc, v[38:39], v[60:61], v[38:39]
	v_fma_f64 v[68:69], -v[62:63], v[64:65], 1.0
	v_fmac_f64_e32 v[64:65], v[64:65], v[68:69]
	v_fma_f64 v[68:69], -v[62:63], v[64:65], 1.0
	v_fmac_f64_e32 v[64:65], v[64:65], v[68:69]
	v_mul_f64 v[68:69], v[66:67], v[64:65]
	v_fma_f64 v[62:63], -v[62:63], v[68:69], v[66:67]
	v_div_fmas_f64 v[62:63], v[62:63], v[64:65], v[68:69]
	v_div_fixup_f64 v[38:39], v[62:63], v[60:61], v[38:39]
.LBB0_29:                               ;   in Loop: Header=BB0_9 Depth=1
	s_and_b64 vcc, exec, s[18:19]
	;; [unrolled: 19-line block ×3, first 2 shown]
	s_cbranch_vccnz .LBB0_33
; %bb.32:                               ;   in Loop: Header=BB0_9 Depth=1
	s_load_dword s48, s[28:29], 0x0
	s_waitcnt lgkmcnt(0)
	v_cvt_f64_f32_e32 v[60:61], s48
	s_waitcnt vmcnt(0)
	v_div_scale_f64 v[62:63], s[48:49], v[60:61], v[60:61], v[42:43]
	v_rcp_f64_e32 v[64:65], v[62:63]
	v_div_scale_f64 v[66:67], vcc, v[42:43], v[60:61], v[42:43]
	v_fma_f64 v[68:69], -v[62:63], v[64:65], 1.0
	v_fmac_f64_e32 v[64:65], v[64:65], v[68:69]
	v_fma_f64 v[68:69], -v[62:63], v[64:65], 1.0
	v_fmac_f64_e32 v[64:65], v[64:65], v[68:69]
	v_mul_f64 v[68:69], v[66:67], v[64:65]
	v_fma_f64 v[62:63], -v[62:63], v[68:69], v[66:67]
	v_div_fmas_f64 v[62:63], v[62:63], v[64:65], v[68:69]
	v_div_fixup_f64 v[42:43], v[62:63], v[60:61], v[42:43]
.LBB0_33:                               ;   in Loop: Header=BB0_9 Depth=1
	s_waitcnt vmcnt(0)
	v_xor_b32_e32 v60, 0x80000000, v37
	v_cndmask_b32_e64 v61, v37, v60, s[2:3]
	v_mov_b32_e32 v60, v36
	v_mov_b64_e32 v[62:63], v[60:61]
	v_fmac_f64_e32 v[62:63], s[20:21], v[44:45]
	v_cndmask_b32_e64 v61, v61, v63, s[8:9]
	v_cndmask_b32_e64 v60, v36, v62, s[8:9]
	v_mul_f64 v[62:63], v[2:3], v[60:61]
	v_fmac_f64_e32 v[62:63], s[22:23], v[52:53]
	v_cndmask_b32_e64 v53, v63, v61, s[4:5]
	v_cndmask_b32_e64 v52, v62, v60, s[4:5]
	s_and_saveexec_b64 s[48:49], s[10:11]
	s_cbranch_execz .LBB0_35
; %bb.34:                               ;   in Loop: Header=BB0_9 Depth=1
	v_fmac_f64_e32 v[60:61], s[22:23], v[52:53]
	v_cndmask_b32_e64 v61, v53, v61, s[6:7]
	v_cndmask_b32_e64 v60, v52, v60, s[6:7]
	v_fma_f64 v[44:45], -v[24:25], v[60:61], v[44:45]
	v_lshl_add_u64 v[60:61], v[4:5], 0, s[38:39]
	global_store_dwordx2 v[60:61], v[44:45], off
.LBB0_35:                               ;   in Loop: Header=BB0_9 Depth=1
	s_or_b64 exec, exec, s[48:49]
	v_xor_b32_e32 v44, 0x80000000, v39
	v_cndmask_b32_e64 v45, v39, v44, s[2:3]
	v_mov_b32_e32 v44, v38
	v_mov_b64_e32 v[60:61], v[44:45]
	v_fmac_f64_e32 v[60:61], s[20:21], v[46:47]
	v_cndmask_b32_e64 v61, v45, v61, s[8:9]
	v_cndmask_b32_e64 v60, v38, v60, s[8:9]
	v_mul_f64 v[44:45], v[2:3], v[60:61]
	v_fmac_f64_e32 v[44:45], s[22:23], v[54:55]
	v_cndmask_b32_e64 v45, v45, v61, s[4:5]
	v_cndmask_b32_e64 v44, v44, v60, s[4:5]
	s_and_saveexec_b64 s[48:49], s[12:13]
	s_cbranch_execz .LBB0_37
; %bb.36:                               ;   in Loop: Header=BB0_9 Depth=1
	v_fmac_f64_e32 v[60:61], s[22:23], v[44:45]
	v_cndmask_b32_e64 v55, v45, v61, s[6:7]
	v_cndmask_b32_e64 v54, v44, v60, s[6:7]
	v_fma_f64 v[46:47], -v[24:25], v[54:55], v[46:47]
	v_lshl_add_u64 v[54:55], v[30:31], 0, s[38:39]
	global_store_dwordx2 v[54:55], v[46:47], off
.LBB0_37:                               ;   in Loop: Header=BB0_9 Depth=1
	s_or_b64 exec, exec, s[48:49]
	;; [unrolled: 22-line block ×4, first 2 shown]
	s_and_b64 vcc, exec, s[18:19]
	s_cbranch_vccnz .LBB0_48
; %bb.42:                               ;   in Loop: Header=BB0_9 Depth=1
	s_and_saveexec_b64 s[18:19], s[10:11]
	s_cbranch_execnz .LBB0_56
; %bb.43:                               ;   in Loop: Header=BB0_9 Depth=1
	s_or_b64 exec, exec, s[18:19]
	s_and_saveexec_b64 s[18:19], s[12:13]
	s_cbranch_execnz .LBB0_57
.LBB0_44:                               ;   in Loop: Header=BB0_9 Depth=1
	s_or_b64 exec, exec, s[18:19]
	s_and_saveexec_b64 s[18:19], s[14:15]
	s_cbranch_execnz .LBB0_58
.LBB0_45:                               ;   in Loop: Header=BB0_9 Depth=1
	s_or_b64 exec, exec, s[18:19]
	s_and_saveexec_b64 s[18:19], s[16:17]
	s_cbranch_execz .LBB0_47
.LBB0_46:                               ;   in Loop: Header=BB0_9 Depth=1
	v_lshl_add_u64 v[36:37], v[12:13], 0, s[38:39]
	global_store_dwordx2 v[36:37], v[42:43], off
.LBB0_47:                               ;   in Loop: Header=BB0_9 Depth=1
	s_or_b64 exec, exec, s[18:19]
.LBB0_48:                               ;   in Loop: Header=BB0_9 Depth=1
	s_and_saveexec_b64 s[18:19], s[10:11]
	s_cbranch_execnz .LBB0_52
; %bb.49:                               ;   in Loop: Header=BB0_9 Depth=1
	s_or_b64 exec, exec, s[18:19]
	s_and_saveexec_b64 s[10:11], s[12:13]
	s_cbranch_execnz .LBB0_53
.LBB0_50:                               ;   in Loop: Header=BB0_9 Depth=1
	s_or_b64 exec, exec, s[10:11]
	s_and_saveexec_b64 s[10:11], s[14:15]
	s_cbranch_execnz .LBB0_54
.LBB0_51:                               ;   in Loop: Header=BB0_9 Depth=1
	s_or_b64 exec, exec, s[10:11]
	s_and_saveexec_b64 s[10:11], s[16:17]
	s_cbranch_execz .LBB0_8
	s_branch .LBB0_55
.LBB0_52:                               ;   in Loop: Header=BB0_9 Depth=1
	v_lshl_add_u64 v[36:37], v[8:9], 0, s[38:39]
	global_store_dwordx2 v[36:37], v[52:53], off
	s_or_b64 exec, exec, s[18:19]
	s_and_saveexec_b64 s[10:11], s[12:13]
	s_cbranch_execz .LBB0_50
.LBB0_53:                               ;   in Loop: Header=BB0_9 Depth=1
	v_lshl_add_u64 v[36:37], v[34:35], 0, s[38:39]
	global_store_dwordx2 v[36:37], v[44:45], off
	s_or_b64 exec, exec, s[10:11]
	s_and_saveexec_b64 s[10:11], s[14:15]
	s_cbranch_execz .LBB0_51
.LBB0_54:                               ;   in Loop: Header=BB0_9 Depth=1
	v_lshl_add_u64 v[36:37], v[22:23], 0, s[38:39]
	global_store_dwordx2 v[36:37], v[46:47], off
	s_or_b64 exec, exec, s[10:11]
	s_and_saveexec_b64 s[10:11], s[16:17]
	s_cbranch_execz .LBB0_8
.LBB0_55:                               ;   in Loop: Header=BB0_9 Depth=1
	v_lshl_add_u64 v[36:37], v[14:15], 0, s[38:39]
	global_store_dwordx2 v[36:37], v[48:49], off
	s_branch .LBB0_8
.LBB0_56:                               ;   in Loop: Header=BB0_9 Depth=1
	v_lshl_add_u64 v[50:51], v[6:7], 0, s[38:39]
	global_store_dwordx2 v[50:51], v[36:37], off
	s_or_b64 exec, exec, s[18:19]
	s_and_saveexec_b64 s[18:19], s[12:13]
	s_cbranch_execz .LBB0_44
.LBB0_57:                               ;   in Loop: Header=BB0_9 Depth=1
	v_lshl_add_u64 v[36:37], v[32:33], 0, s[38:39]
	global_store_dwordx2 v[36:37], v[38:39], off
	s_or_b64 exec, exec, s[18:19]
	s_and_saveexec_b64 s[18:19], s[14:15]
	s_cbranch_execz .LBB0_45
.LBB0_58:                               ;   in Loop: Header=BB0_9 Depth=1
	v_lshl_add_u64 v[36:37], v[20:21], 0, s[38:39]
	global_store_dwordx2 v[36:37], v[40:41], off
	s_or_b64 exec, exec, s[18:19]
	s_and_saveexec_b64 s[18:19], s[16:17]
	s_cbranch_execnz .LBB0_46
	s_branch .LBB0_47
.LBB0_59:
	s_mov_b64 s[8:9], 0
.LBB0_60:
	s_andn2_b64 vcc, exec, s[8:9]
	s_cbranch_vccnz .LBB0_74
; %bb.61:
	v_mov_b32_e32 v27, 0
	v_lshlrev_b32_e32 v26, 2, v0
	v_cmp_gt_i64_e32 vcc, s[24:25], v[26:27]
	s_and_saveexec_b64 s[8:9], vcc
	s_cbranch_execz .LBB0_74
; %bb.62:
	s_load_dword s10, s[0:1], 0xc9c
	s_cmp_lg_u64 s[28:29], 0
	s_cselect_b64 s[8:9], -1, 0
	v_cndmask_b32_e64 v2, 0, 1, s[8:9]
	v_mov_b32_e32 v1, v27
	s_waitcnt lgkmcnt(0)
	s_and_b32 s16, s10, 0xffff
	v_add_lshl_u32 v26, v0, s16, 2
	s_mov_b64 s[12:13], 0
	v_cmp_neq_f64_e64 s[0:1], s[20:21], 0
	v_add_f64 v[28:29], -s[36:37], 1.0
	v_add_u32_e32 v38, s16, v0
	s_mov_b32 s15, 0
	s_lshl_b32 s14, s16, 2
	v_cmp_ne_u32_e64 s[8:9], 1, v2
	s_movk_i32 s17, 0x3fff
	v_mov_b64_e32 v[30:31], v[26:27]
	v_mov_b32_e32 v26, v0
	s_branch .LBB0_64
.LBB0_63:                               ;   in Loop: Header=BB0_64 Depth=1
	v_cmp_le_u64_e32 vcc, s[24:25], v[30:31]
	v_cmp_lt_u32_e64 s[10:11], s17, v38
	s_or_b64 s[10:11], vcc, s[10:11]
	v_add_u32_e32 v26, s16, v26
	s_and_b64 s[10:11], exec, s[10:11]
	v_add_u32_e32 v38, s16, v38
	v_lshl_add_u64 v[30:31], v[30:31], 0, s[14:15]
	s_or_b64 s[12:13], s[10:11], s[12:13]
	v_mov_b64_e32 v[0:1], v[26:27]
	global_store_dwordx4 v[32:33], v[20:23], off
	global_store_dwordx4 v[32:33], v[12:15], off offset:16
	s_andn2_b64 exec, exec, s[12:13]
	s_cbranch_execz .LBB0_74
.LBB0_64:                               ; =>This Inner Loop Header: Depth=1
	v_lshlrev_b64 v[12:13], 5, v[0:1]
	v_lshl_add_u64 v[36:37], s[26:27], 0, v[12:13]
	v_lshl_add_u64 v[34:35], s[30:31], 0, v[12:13]
	;; [unrolled: 1-line block ×3, first 2 shown]
	global_load_dwordx4 v[8:11], v[36:37], off offset:16
	global_load_dwordx4 v[16:19], v[36:37], off
	global_load_dwordx4 v[0:3], v[34:35], off offset:16
	global_load_dwordx4 v[4:7], v[34:35], off
	;; [unrolled: 2-line block ×3, first 2 shown]
	s_and_b64 vcc, exec, s[8:9]
	s_cbranch_vccnz .LBB0_66
; %bb.65:                               ;   in Loop: Header=BB0_64 Depth=1
	global_load_dword v39, v27, s[28:29]
	s_waitcnt vmcnt(0)
	v_cvt_f64_f32_e32 v[40:41], v39
	v_div_scale_f64 v[42:43], s[10:11], v[40:41], v[40:41], v[4:5]
	v_rcp_f64_e32 v[44:45], v[42:43]
	v_div_scale_f64 v[46:47], vcc, v[4:5], v[40:41], v[4:5]
	v_fma_f64 v[48:49], -v[42:43], v[44:45], 1.0
	v_fmac_f64_e32 v[44:45], v[44:45], v[48:49]
	v_fma_f64 v[48:49], -v[42:43], v[44:45], 1.0
	v_fmac_f64_e32 v[44:45], v[44:45], v[48:49]
	v_mul_f64 v[48:49], v[46:47], v[44:45]
	v_fma_f64 v[42:43], -v[42:43], v[48:49], v[46:47]
	v_div_fmas_f64 v[42:43], v[42:43], v[44:45], v[48:49]
	v_div_fixup_f64 v[4:5], v[42:43], v[40:41], v[4:5]
.LBB0_66:                               ;   in Loop: Header=BB0_64 Depth=1
	s_and_b64 vcc, exec, s[8:9]
	s_cbranch_vccnz .LBB0_68
; %bb.67:                               ;   in Loop: Header=BB0_64 Depth=1
	global_load_dword v39, v27, s[28:29]
	s_waitcnt vmcnt(0)
	v_cvt_f64_f32_e32 v[40:41], v39
	v_div_scale_f64 v[42:43], s[10:11], v[40:41], v[40:41], v[6:7]
	v_rcp_f64_e32 v[44:45], v[42:43]
	v_div_scale_f64 v[46:47], vcc, v[6:7], v[40:41], v[6:7]
	v_fma_f64 v[48:49], -v[42:43], v[44:45], 1.0
	v_fmac_f64_e32 v[44:45], v[44:45], v[48:49]
	v_fma_f64 v[48:49], -v[42:43], v[44:45], 1.0
	v_fmac_f64_e32 v[44:45], v[44:45], v[48:49]
	v_mul_f64 v[48:49], v[46:47], v[44:45]
	v_fma_f64 v[42:43], -v[42:43], v[48:49], v[46:47]
	v_div_fmas_f64 v[42:43], v[42:43], v[44:45], v[48:49]
	v_div_fixup_f64 v[6:7], v[42:43], v[40:41], v[6:7]
.LBB0_68:                               ;   in Loop: Header=BB0_64 Depth=1
	;; [unrolled: 18-line block ×4, first 2 shown]
	s_waitcnt vmcnt(3)
	v_xor_b32_e32 v39, 0x80000000, v1
	v_cndmask_b32_e64 v41, v1, v39, s[2:3]
	v_mov_b32_e32 v40, v0
	v_mov_b64_e32 v[42:43], v[40:41]
	v_fmac_f64_e32 v[42:43], s[20:21], v[8:9]
	v_cndmask_b32_e64 v41, v41, v43, s[0:1]
	v_cndmask_b32_e64 v40, v0, v42, s[0:1]
	v_mul_f64 v[42:43], v[28:29], v[40:41]
	s_waitcnt vmcnt(1)
	v_fmac_f64_e32 v[42:43], s[22:23], v[12:13]
	v_cndmask_b32_e64 v13, v43, v41, s[4:5]
	v_cndmask_b32_e64 v12, v42, v40, s[4:5]
	v_fmac_f64_e32 v[40:41], s[22:23], v[12:13]
	v_cndmask_b32_e64 v41, v13, v41, s[6:7]
	v_cndmask_b32_e64 v40, v12, v40, s[6:7]
	v_xor_b32_e32 v39, 0x80000000, v7
	v_fma_f64 v[8:9], -v[24:25], v[40:41], v[8:9]
	v_cndmask_b32_e64 v41, v7, v39, s[2:3]
	v_mov_b32_e32 v40, v6
	v_mov_b64_e32 v[42:43], v[40:41]
	v_fmac_f64_e32 v[42:43], s[20:21], v[18:19]
	v_cndmask_b32_e64 v41, v41, v43, s[0:1]
	v_cndmask_b32_e64 v40, v6, v42, s[0:1]
	v_mul_f64 v[42:43], v[28:29], v[40:41]
	s_waitcnt vmcnt(0)
	v_fmac_f64_e32 v[42:43], s[22:23], v[22:23]
	v_cndmask_b32_e64 v23, v43, v41, s[4:5]
	v_cndmask_b32_e64 v22, v42, v40, s[4:5]
	v_fmac_f64_e32 v[40:41], s[22:23], v[22:23]
	v_cndmask_b32_e64 v41, v23, v41, s[6:7]
	v_cndmask_b32_e64 v40, v22, v40, s[6:7]
	v_xor_b32_e32 v39, 0x80000000, v5
	v_fma_f64 v[18:19], -v[24:25], v[40:41], v[18:19]
	v_cndmask_b32_e64 v41, v5, v39, s[2:3]
	v_mov_b32_e32 v40, v4
	v_mov_b64_e32 v[42:43], v[40:41]
	v_fmac_f64_e32 v[42:43], s[20:21], v[16:17]
	v_cndmask_b32_e64 v41, v41, v43, s[0:1]
	v_cndmask_b32_e64 v40, v4, v42, s[0:1]
	v_mul_f64 v[42:43], v[28:29], v[40:41]
	v_fmac_f64_e32 v[42:43], s[22:23], v[20:21]
	v_cndmask_b32_e64 v21, v43, v41, s[4:5]
	v_cndmask_b32_e64 v20, v42, v40, s[4:5]
	v_fmac_f64_e32 v[40:41], s[22:23], v[20:21]
	v_cndmask_b32_e64 v41, v21, v41, s[6:7]
	v_cndmask_b32_e64 v40, v20, v40, s[6:7]
	v_xor_b32_e32 v39, 0x80000000, v3
	v_fma_f64 v[16:17], -v[24:25], v[40:41], v[16:17]
	v_cndmask_b32_e64 v41, v3, v39, s[2:3]
	v_mov_b32_e32 v40, v2
	v_mov_b64_e32 v[42:43], v[40:41]
	v_fmac_f64_e32 v[42:43], s[20:21], v[10:11]
	v_cndmask_b32_e64 v41, v41, v43, s[0:1]
	v_cndmask_b32_e64 v40, v2, v42, s[0:1]
	v_mul_f64 v[42:43], v[28:29], v[40:41]
	v_fmac_f64_e32 v[42:43], s[22:23], v[14:15]
	v_cndmask_b32_e64 v15, v43, v41, s[4:5]
	v_cndmask_b32_e64 v14, v42, v40, s[4:5]
	v_fmac_f64_e32 v[40:41], s[22:23], v[14:15]
	v_cndmask_b32_e64 v41, v15, v41, s[6:7]
	v_cndmask_b32_e64 v40, v14, v40, s[6:7]
	v_fma_f64 v[10:11], -v[24:25], v[40:41], v[10:11]
	s_and_b64 vcc, exec, s[8:9]
	global_store_dwordx4 v[36:37], v[16:19], off
	global_store_dwordx4 v[36:37], v[8:11], off offset:16
	s_cbranch_vccnz .LBB0_63
; %bb.73:                               ;   in Loop: Header=BB0_64 Depth=1
	global_store_dwordx4 v[34:35], v[4:7], off
	global_store_dwordx4 v[34:35], v[0:3], off offset:16
	s_branch .LBB0_63
.LBB0_74:
	s_endpgm
	.section	.rodata,"a",@progbits
	.p2align	6, 0x0
	.amdhsa_kernel _ZN2at6native12_GLOBAL__N_125multi_tensor_apply_kernelINS1_18TensorListMetadataILi3EEENS1_19FusedSgdMathFunctorIdLi3EEEJddPfddbbbS7_S7_EEEvT_T0_DpT1_
		.amdhsa_group_segment_fixed_size 0
		.amdhsa_private_segment_fixed_size 0
		.amdhsa_kernarg_size 3472
		.amdhsa_user_sgpr_count 2
		.amdhsa_user_sgpr_dispatch_ptr 0
		.amdhsa_user_sgpr_queue_ptr 0
		.amdhsa_user_sgpr_kernarg_segment_ptr 1
		.amdhsa_user_sgpr_dispatch_id 0
		.amdhsa_user_sgpr_kernarg_preload_length 0
		.amdhsa_user_sgpr_kernarg_preload_offset 0
		.amdhsa_user_sgpr_private_segment_size 0
		.amdhsa_uses_dynamic_stack 0
		.amdhsa_enable_private_segment 0
		.amdhsa_system_sgpr_workgroup_id_x 1
		.amdhsa_system_sgpr_workgroup_id_y 0
		.amdhsa_system_sgpr_workgroup_id_z 0
		.amdhsa_system_sgpr_workgroup_info 0
		.amdhsa_system_vgpr_workitem_id 0
		.amdhsa_next_free_vgpr 70
		.amdhsa_next_free_sgpr 52
		.amdhsa_accum_offset 72
		.amdhsa_reserve_vcc 1
		.amdhsa_float_round_mode_32 0
		.amdhsa_float_round_mode_16_64 0
		.amdhsa_float_denorm_mode_32 3
		.amdhsa_float_denorm_mode_16_64 3
		.amdhsa_dx10_clamp 1
		.amdhsa_ieee_mode 1
		.amdhsa_fp16_overflow 0
		.amdhsa_tg_split 0
		.amdhsa_exception_fp_ieee_invalid_op 0
		.amdhsa_exception_fp_denorm_src 0
		.amdhsa_exception_fp_ieee_div_zero 0
		.amdhsa_exception_fp_ieee_overflow 0
		.amdhsa_exception_fp_ieee_underflow 0
		.amdhsa_exception_fp_ieee_inexact 0
		.amdhsa_exception_int_div_zero 0
	.end_amdhsa_kernel
	.section	.text._ZN2at6native12_GLOBAL__N_125multi_tensor_apply_kernelINS1_18TensorListMetadataILi3EEENS1_19FusedSgdMathFunctorIdLi3EEEJddPfddbbbS7_S7_EEEvT_T0_DpT1_,"axG",@progbits,_ZN2at6native12_GLOBAL__N_125multi_tensor_apply_kernelINS1_18TensorListMetadataILi3EEENS1_19FusedSgdMathFunctorIdLi3EEEJddPfddbbbS7_S7_EEEvT_T0_DpT1_,comdat
.Lfunc_end0:
	.size	_ZN2at6native12_GLOBAL__N_125multi_tensor_apply_kernelINS1_18TensorListMetadataILi3EEENS1_19FusedSgdMathFunctorIdLi3EEEJddPfddbbbS7_S7_EEEvT_T0_DpT1_, .Lfunc_end0-_ZN2at6native12_GLOBAL__N_125multi_tensor_apply_kernelINS1_18TensorListMetadataILi3EEENS1_19FusedSgdMathFunctorIdLi3EEEJddPfddbbbS7_S7_EEEvT_T0_DpT1_
                                        ; -- End function
	.set _ZN2at6native12_GLOBAL__N_125multi_tensor_apply_kernelINS1_18TensorListMetadataILi3EEENS1_19FusedSgdMathFunctorIdLi3EEEJddPfddbbbS7_S7_EEEvT_T0_DpT1_.num_vgpr, 70
	.set _ZN2at6native12_GLOBAL__N_125multi_tensor_apply_kernelINS1_18TensorListMetadataILi3EEENS1_19FusedSgdMathFunctorIdLi3EEEJddPfddbbbS7_S7_EEEvT_T0_DpT1_.num_agpr, 0
	.set _ZN2at6native12_GLOBAL__N_125multi_tensor_apply_kernelINS1_18TensorListMetadataILi3EEENS1_19FusedSgdMathFunctorIdLi3EEEJddPfddbbbS7_S7_EEEvT_T0_DpT1_.numbered_sgpr, 52
	.set _ZN2at6native12_GLOBAL__N_125multi_tensor_apply_kernelINS1_18TensorListMetadataILi3EEENS1_19FusedSgdMathFunctorIdLi3EEEJddPfddbbbS7_S7_EEEvT_T0_DpT1_.num_named_barrier, 0
	.set _ZN2at6native12_GLOBAL__N_125multi_tensor_apply_kernelINS1_18TensorListMetadataILi3EEENS1_19FusedSgdMathFunctorIdLi3EEEJddPfddbbbS7_S7_EEEvT_T0_DpT1_.private_seg_size, 0
	.set _ZN2at6native12_GLOBAL__N_125multi_tensor_apply_kernelINS1_18TensorListMetadataILi3EEENS1_19FusedSgdMathFunctorIdLi3EEEJddPfddbbbS7_S7_EEEvT_T0_DpT1_.uses_vcc, 1
	.set _ZN2at6native12_GLOBAL__N_125multi_tensor_apply_kernelINS1_18TensorListMetadataILi3EEENS1_19FusedSgdMathFunctorIdLi3EEEJddPfddbbbS7_S7_EEEvT_T0_DpT1_.uses_flat_scratch, 0
	.set _ZN2at6native12_GLOBAL__N_125multi_tensor_apply_kernelINS1_18TensorListMetadataILi3EEENS1_19FusedSgdMathFunctorIdLi3EEEJddPfddbbbS7_S7_EEEvT_T0_DpT1_.has_dyn_sized_stack, 0
	.set _ZN2at6native12_GLOBAL__N_125multi_tensor_apply_kernelINS1_18TensorListMetadataILi3EEENS1_19FusedSgdMathFunctorIdLi3EEEJddPfddbbbS7_S7_EEEvT_T0_DpT1_.has_recursion, 0
	.set _ZN2at6native12_GLOBAL__N_125multi_tensor_apply_kernelINS1_18TensorListMetadataILi3EEENS1_19FusedSgdMathFunctorIdLi3EEEJddPfddbbbS7_S7_EEEvT_T0_DpT1_.has_indirect_call, 0
	.section	.AMDGPU.csdata,"",@progbits
; Kernel info:
; codeLenInByte = 3552
; TotalNumSgprs: 58
; NumVgprs: 70
; NumAgprs: 0
; TotalNumVgprs: 70
; ScratchSize: 0
; MemoryBound: 1
; FloatMode: 240
; IeeeMode: 1
; LDSByteSize: 0 bytes/workgroup (compile time only)
; SGPRBlocks: 7
; VGPRBlocks: 8
; NumSGPRsForWavesPerEU: 58
; NumVGPRsForWavesPerEU: 70
; AccumOffset: 72
; Occupancy: 7
; WaveLimiterHint : 0
; COMPUTE_PGM_RSRC2:SCRATCH_EN: 0
; COMPUTE_PGM_RSRC2:USER_SGPR: 2
; COMPUTE_PGM_RSRC2:TRAP_HANDLER: 0
; COMPUTE_PGM_RSRC2:TGID_X_EN: 1
; COMPUTE_PGM_RSRC2:TGID_Y_EN: 0
; COMPUTE_PGM_RSRC2:TGID_Z_EN: 0
; COMPUTE_PGM_RSRC2:TIDIG_COMP_CNT: 0
; COMPUTE_PGM_RSRC3_GFX90A:ACCUM_OFFSET: 17
; COMPUTE_PGM_RSRC3_GFX90A:TG_SPLIT: 0
	.section	.text._ZN2at6native12_GLOBAL__N_125multi_tensor_apply_kernelINS1_18TensorListMetadataILi3EEENS1_19FusedSgdMathFunctorIfLi3EEEJddPfddbbbS7_S7_EEEvT_T0_DpT1_,"axG",@progbits,_ZN2at6native12_GLOBAL__N_125multi_tensor_apply_kernelINS1_18TensorListMetadataILi3EEENS1_19FusedSgdMathFunctorIfLi3EEEJddPfddbbbS7_S7_EEEvT_T0_DpT1_,comdat
	.globl	_ZN2at6native12_GLOBAL__N_125multi_tensor_apply_kernelINS1_18TensorListMetadataILi3EEENS1_19FusedSgdMathFunctorIfLi3EEEJddPfddbbbS7_S7_EEEvT_T0_DpT1_ ; -- Begin function _ZN2at6native12_GLOBAL__N_125multi_tensor_apply_kernelINS1_18TensorListMetadataILi3EEENS1_19FusedSgdMathFunctorIfLi3EEEJddPfddbbbS7_S7_EEEvT_T0_DpT1_
	.p2align	8
	.type	_ZN2at6native12_GLOBAL__N_125multi_tensor_apply_kernelINS1_18TensorListMetadataILi3EEENS1_19FusedSgdMathFunctorIfLi3EEEJddPfddbbbS7_S7_EEEvT_T0_DpT1_,@function
_ZN2at6native12_GLOBAL__N_125multi_tensor_apply_kernelINS1_18TensorListMetadataILi3EEENS1_19FusedSgdMathFunctorIfLi3EEEJddPfddbbbS7_S7_EEEvT_T0_DpT1_: ; @_ZN2at6native12_GLOBAL__N_125multi_tensor_apply_kernelINS1_18TensorListMetadataILi3EEENS1_19FusedSgdMathFunctorIfLi3EEEJddPfddbbbS7_S7_EEEvT_T0_DpT1_
; %bb.0:
	s_load_dwordx4 s[20:23], s[0:1], 0xc80
	s_waitcnt lgkmcnt(0)
	s_cmp_eq_u64 s[22:23], 0
	s_cselect_b64 s[4:5], -1, 0
	s_and_b64 vcc, exec, s[4:5]
	s_cbranch_vccnz .LBB1_2
; %bb.1:
	s_load_dword s3, s[22:23], 0x0
	s_waitcnt lgkmcnt(0)
	v_cmp_neq_f32_e64 s[4:5], s3, 1.0
.LBB1_2:
	s_andn2_b64 vcc, exec, s[4:5]
	s_cbranch_vccnz .LBB1_75
; %bb.3:
	v_mov_b32_e32 v1, s2
	global_load_ubyte v1, v1, s[0:1] offset:1536
	s_load_dwordx2 s[12:13], s[0:1], 0xc70
	s_load_dwordx8 s[4:11], s[0:1], 0xc50
	s_add_u32 s3, s0, s2
	s_mul_hi_u32 s14, s2, 3
	s_mul_i32 s2, s2, 3
	s_addc_u32 s15, s1, 0
	s_add_u32 s2, s3, s2
	s_addc_u32 s3, s15, s14
	s_waitcnt lgkmcnt(0)
	s_cmp_eq_u64 s[8:9], 0
	s_mov_b64 s[16:17], 0
	s_waitcnt vmcnt(0)
	v_readfirstlane_b32 s15, v1
	s_cbranch_scc1 .LBB1_76
; %bb.4:
	s_load_dword s8, s[8:9], 0x0
	s_nop 0
	s_load_dword s14, s[2:3], 0x740
	s_andn2_b64 vcc, exec, s[16:17]
	s_waitcnt lgkmcnt(0)
	v_mov_b32_e32 v32, s8
	s_cbranch_vccnz .LBB1_6
.LBB1_5:
	v_cvt_f32_f64_e32 v32, s[10:11]
.LBB1_6:
	s_load_dword s2, s[0:1], 0xc78
	v_cvt_f32_f64_e32 v33, s[4:5]
	v_cvt_f32_f64_e32 v34, s[6:7]
	;; [unrolled: 1-line block ×3, first 2 shown]
	s_waitcnt lgkmcnt(0)
	s_bitcmp1_b32 s2, 0
	s_cselect_b64 s[4:5], -1, 0
	s_bitcmp1_b32 s2, 8
	s_cselect_b64 s[18:19], -1, 0
	;; [unrolled: 2-line block ×3, first 2 shown]
	s_and_b32 s6, s15, 0xff
	s_lshl_b32 s22, s6, 3
	s_load_dwordx2 s[6:7], s[0:1], s22 offset:0x480
	s_ashr_i32 s15, s14, 31
	s_lshl_b64 s[16:17], s[14:15], 16
	s_load_dwordx2 s[8:9], s[0:1], s22 offset:0x0
	s_load_dwordx2 s[10:11], s[0:1], s22 offset:0x180
	;; [unrolled: 1-line block ×3, first 2 shown]
	s_waitcnt lgkmcnt(0)
	s_sub_u32 s22, s6, s16
	s_subb_u32 s23, s7, s17
	s_lshl_b64 s[30:31], s[14:15], 18
	s_add_u32 s24, s8, s30
	s_addc_u32 s25, s9, s31
	s_and_b32 s14, s24, 15
	s_add_u32 s26, s10, s30
	s_addc_u32 s27, s11, s31
	s_and_b32 s16, s26, 15
	s_mov_b32 s15, 0
	s_add_u32 s28, s12, s30
	s_addc_u32 s29, s13, s31
	s_and_b32 s34, s28, 15
	s_mov_b32 s35, s15
	s_and_b32 s6, s6, 3
	s_mov_b32 s7, s15
	s_mov_b32 s17, s15
	s_or_b64 s[6:7], s[6:7], s[34:35]
	s_or_b64 s[6:7], s[6:7], s[16:17]
	;; [unrolled: 1-line block ×3, first 2 shown]
	s_cmp_eq_u64 s[6:7], 0
	s_mov_b64 s[6:7], -1
	s_cbranch_scc1 .LBB1_61
; %bb.7:
	v_cmp_lt_i64_e64 s[6:7], s[22:23], 1
	s_and_b64 vcc, exec, s[6:7]
	s_cbranch_vccnz .LBB1_60
; %bb.8:
	s_load_dword s14, s[0:1], 0xc9c
	v_mov_b64_e32 v[2:3], 0x10000
	v_cmp_lt_i64_e32 vcc, s[22:23], v[2:3]
	s_and_b64 s[6:7], vcc, exec
	s_cselect_b32 s35, s23, 0
	s_cselect_b32 s34, s22, 0x10000
	s_waitcnt lgkmcnt(0)
	s_and_b32 s14, s14, 0xffff
	s_lshl_b32 s16, s14, 1
	v_mov_b32_e32 v1, 0
	s_mul_i32 s42, s14, 3
	s_mov_b32 s43, s15
	s_cmp_lg_u64 s[20:21], 0
	s_cselect_b64 s[38:39], -1, 0
	v_lshlrev_b32_e32 v16, 2, v0
	v_mov_b32_e32 v17, v1
	v_lshl_add_u64 v[14:15], s[42:43], 0, v[0:1]
	s_lshl_b32 s42, s14, 3
	v_lshl_add_u64 v[24:25], v[0:1], 0, s[14:15]
	s_mov_b32 s17, s15
	v_mad_u64_u32 v[12:13], s[44:45], s14, 12, v[16:17]
	v_lshl_add_u64 v[20:21], s[42:43], 0, v[16:17]
	v_lshlrev_b32_e32 v30, 2, v24
	v_mov_b32_e32 v31, v1
	s_mov_b64 s[36:37], 0
	v_cmp_neq_f32_e64 s[6:7], 0, v33
	v_sub_f32_e32 v36, 1.0, v35
	s_lshl_b32 s33, s14, 2
	v_lshl_add_u64 v[2:3], s[8:9], 0, v[16:17]
	s_lshl_b32 s40, s14, 4
	s_mov_b32 s41, s15
	v_lshl_add_u64 v[4:5], s[10:11], 0, v[16:17]
	v_lshl_add_u64 v[6:7], s[12:13], 0, v[16:17]
	;; [unrolled: 1-line block ×12, first 2 shown]
	s_branch .LBB1_10
.LBB1_9:                                ;   in Loop: Header=BB1_10 Depth=1
	s_or_b64 exec, exec, s[8:9]
	s_add_u32 s36, s36, s33
	s_addc_u32 s37, s37, 0
	v_mov_b64_e32 v[38:39], s[34:35]
	v_cmp_lt_i64_e32 vcc, s[36:37], v[38:39]
	v_lshl_add_u64 v[2:3], v[2:3], 0, s[40:41]
	v_lshl_add_u64 v[4:5], v[4:5], 0, s[40:41]
	;; [unrolled: 1-line block ×12, first 2 shown]
	s_cbranch_vccz .LBB1_60
.LBB1_10:                               ; =>This Inner Loop Header: Depth=1
	v_lshl_add_u64 v[38:39], v[0:1], 0, s[36:37]
	v_cmp_gt_i64_e64 s[8:9], s[34:35], v[38:39]
	v_mov_b32_e32 v37, 0
	v_mov_b32_e32 v41, 0
	s_and_saveexec_b64 s[10:11], s[8:9]
	s_cbranch_execz .LBB1_12
; %bb.11:                               ;   in Loop: Header=BB1_10 Depth=1
	v_lshl_add_u64 v[42:43], v[2:3], 0, s[30:31]
	v_lshl_add_u64 v[38:39], v[4:5], 0, s[30:31]
	global_load_dword v41, v[42:43], off
	global_load_dword v37, v[38:39], off
.LBB1_12:                               ;   in Loop: Header=BB1_10 Depth=1
	s_or_b64 exec, exec, s[10:11]
	v_mov_b32_e32 v38, 0
	v_mov_b32_e32 v43, 0
	s_and_saveexec_b64 s[10:11], s[8:9]
	s_cbranch_execz .LBB1_14
; %bb.13:                               ;   in Loop: Header=BB1_10 Depth=1
	v_lshl_add_u64 v[42:43], v[6:7], 0, s[30:31]
	global_load_dword v43, v[42:43], off
.LBB1_14:                               ;   in Loop: Header=BB1_10 Depth=1
	s_or_b64 exec, exec, s[10:11]
	v_lshl_add_u64 v[44:45], v[24:25], 0, s[36:37]
	v_cmp_gt_i64_e64 s[10:11], s[34:35], v[44:45]
	v_mov_b32_e32 v42, 0
	s_and_saveexec_b64 s[12:13], s[10:11]
	s_cbranch_execz .LBB1_16
; %bb.15:                               ;   in Loop: Header=BB1_10 Depth=1
	v_lshl_add_u64 v[46:47], v[26:27], 0, s[30:31]
	v_lshl_add_u64 v[44:45], v[28:29], 0, s[30:31]
	global_load_dword v42, v[46:47], off
	global_load_dword v38, v[44:45], off
.LBB1_16:                               ;   in Loop: Header=BB1_10 Depth=1
	s_or_b64 exec, exec, s[12:13]
	v_mov_b32_e32 v39, 0
	v_mov_b32_e32 v45, 0
	s_and_saveexec_b64 s[12:13], s[10:11]
	s_cbranch_execz .LBB1_18
; %bb.17:                               ;   in Loop: Header=BB1_10 Depth=1
	v_lshl_add_u64 v[44:45], v[30:31], 0, s[30:31]
	global_load_dword v45, v[44:45], off
.LBB1_18:                               ;   in Loop: Header=BB1_10 Depth=1
	s_or_b64 exec, exec, s[12:13]
	v_lshl_add_u64 v[46:47], v[22:23], 0, s[36:37]
	v_cmp_gt_i64_e64 s[12:13], s[34:35], v[46:47]
	;; [unrolled: 21-line block ×3, first 2 shown]
	v_mov_b32_e32 v46, 0
	s_and_saveexec_b64 s[16:17], s[14:15]
	s_cbranch_execz .LBB1_24
; %bb.23:                               ;   in Loop: Header=BB1_10 Depth=1
	v_lshl_add_u64 v[50:51], v[8:9], 0, s[30:31]
	v_lshl_add_u64 v[48:49], v[10:11], 0, s[30:31]
	global_load_dword v46, v[50:51], off
	global_load_dword v40, v[48:49], off
.LBB1_24:                               ;   in Loop: Header=BB1_10 Depth=1
	s_or_b64 exec, exec, s[16:17]
	v_mov_b32_e32 v48, 0
	s_and_saveexec_b64 s[16:17], s[14:15]
	s_cbranch_execz .LBB1_26
; %bb.25:                               ;   in Loop: Header=BB1_10 Depth=1
	v_lshl_add_u64 v[48:49], v[12:13], 0, s[30:31]
	global_load_dword v48, v[48:49], off
.LBB1_26:                               ;   in Loop: Header=BB1_10 Depth=1
	s_or_b64 exec, exec, s[16:17]
	v_cndmask_b32_e64 v49, 0, 1, s[38:39]
	v_cmp_ne_u32_e64 s[16:17], 1, v49
	s_andn2_b64 vcc, exec, s[38:39]
	s_cbranch_vccnz .LBB1_28
; %bb.27:                               ;   in Loop: Header=BB1_10 Depth=1
	global_load_dword v49, v1, s[20:21]
	s_waitcnt vmcnt(0)
	v_div_scale_f32 v50, s[42:43], v49, v49, v37
	v_rcp_f32_e32 v51, v50
	v_div_scale_f32 v52, vcc, v37, v49, v37
	v_fma_f32 v53, -v50, v51, 1.0
	v_fmac_f32_e32 v51, v53, v51
	v_mul_f32_e32 v53, v52, v51
	v_fma_f32 v54, -v50, v53, v52
	v_fmac_f32_e32 v53, v54, v51
	v_fma_f32 v50, -v50, v53, v52
	v_div_fmas_f32 v50, v50, v51, v53
	v_div_fixup_f32 v37, v50, v49, v37
.LBB1_28:                               ;   in Loop: Header=BB1_10 Depth=1
	s_and_b64 vcc, exec, s[16:17]
	s_cbranch_vccnz .LBB1_30
; %bb.29:                               ;   in Loop: Header=BB1_10 Depth=1
	global_load_dword v49, v1, s[20:21]
	s_waitcnt vmcnt(0)
	v_div_scale_f32 v50, s[42:43], v49, v49, v38
	v_rcp_f32_e32 v51, v50
	v_div_scale_f32 v52, vcc, v38, v49, v38
	v_fma_f32 v53, -v50, v51, 1.0
	v_fmac_f32_e32 v51, v53, v51
	v_mul_f32_e32 v53, v52, v51
	v_fma_f32 v54, -v50, v53, v52
	v_fmac_f32_e32 v53, v54, v51
	v_fma_f32 v50, -v50, v53, v52
	v_div_fmas_f32 v50, v50, v51, v53
	v_div_fixup_f32 v38, v50, v49, v38
.LBB1_30:                               ;   in Loop: Header=BB1_10 Depth=1
	s_and_b64 vcc, exec, s[16:17]
	;; [unrolled: 17-line block ×3, first 2 shown]
	s_cbranch_vccnz .LBB1_34
; %bb.33:                               ;   in Loop: Header=BB1_10 Depth=1
	global_load_dword v49, v1, s[20:21]
	s_waitcnt vmcnt(0)
	v_div_scale_f32 v50, s[42:43], v49, v49, v40
	v_rcp_f32_e32 v51, v50
	v_div_scale_f32 v52, vcc, v40, v49, v40
	v_fma_f32 v53, -v50, v51, 1.0
	v_fmac_f32_e32 v51, v53, v51
	v_mul_f32_e32 v53, v52, v51
	v_fma_f32 v54, -v50, v53, v52
	v_fmac_f32_e32 v53, v54, v51
	v_fma_f32 v50, -v50, v53, v52
	v_div_fmas_f32 v50, v50, v51, v53
	v_div_fixup_f32 v40, v50, v49, v40
.LBB1_34:                               ;   in Loop: Header=BB1_10 Depth=1
	s_waitcnt vmcnt(0)
	v_cndmask_b32_e64 v49, v37, -v37, s[18:19]
	v_fma_f32 v50, v41, v33, v49
	v_cndmask_b32_e64 v49, v49, v50, s[6:7]
	v_mul_f32_e32 v50, v36, v49
	v_fmac_f32_e32 v50, v43, v34
	v_cndmask_b32_e64 v43, v50, v49, s[2:3]
	s_and_saveexec_b64 s[42:43], s[8:9]
	s_cbranch_execz .LBB1_36
; %bb.35:                               ;   in Loop: Header=BB1_10 Depth=1
	v_fmac_f32_e32 v49, v43, v34
	v_cndmask_b32_e64 v49, v43, v49, s[4:5]
	v_fma_f32 v41, -v32, v49, v41
	v_lshl_add_u64 v[50:51], v[2:3], 0, s[30:31]
	global_store_dword v[50:51], v41, off
.LBB1_36:                               ;   in Loop: Header=BB1_10 Depth=1
	s_or_b64 exec, exec, s[42:43]
	v_cndmask_b32_e64 v41, v38, -v38, s[18:19]
	v_fma_f32 v49, v42, v33, v41
	v_cndmask_b32_e64 v49, v41, v49, s[6:7]
	v_mul_f32_e32 v41, v36, v49
	v_fmac_f32_e32 v41, v45, v34
	v_cndmask_b32_e64 v41, v41, v49, s[2:3]
	s_and_saveexec_b64 s[42:43], s[10:11]
	s_cbranch_execz .LBB1_38
; %bb.37:                               ;   in Loop: Header=BB1_10 Depth=1
	v_fmac_f32_e32 v49, v41, v34
	v_cndmask_b32_e64 v45, v41, v49, s[4:5]
	v_fma_f32 v42, -v32, v45, v42
	v_lshl_add_u64 v[50:51], v[26:27], 0, s[30:31]
	global_store_dword v[50:51], v42, off
.LBB1_38:                               ;   in Loop: Header=BB1_10 Depth=1
	s_or_b64 exec, exec, s[42:43]
	;; [unrolled: 16-line block ×4, first 2 shown]
	s_and_b64 vcc, exec, s[16:17]
	s_cbranch_vccnz .LBB1_49
; %bb.43:                               ;   in Loop: Header=BB1_10 Depth=1
	s_and_saveexec_b64 s[16:17], s[8:9]
	s_cbranch_execnz .LBB1_57
; %bb.44:                               ;   in Loop: Header=BB1_10 Depth=1
	s_or_b64 exec, exec, s[16:17]
	s_and_saveexec_b64 s[16:17], s[10:11]
	s_cbranch_execnz .LBB1_58
.LBB1_45:                               ;   in Loop: Header=BB1_10 Depth=1
	s_or_b64 exec, exec, s[16:17]
	s_and_saveexec_b64 s[16:17], s[12:13]
	s_cbranch_execnz .LBB1_59
.LBB1_46:                               ;   in Loop: Header=BB1_10 Depth=1
	s_or_b64 exec, exec, s[16:17]
	s_and_saveexec_b64 s[16:17], s[14:15]
	s_cbranch_execz .LBB1_48
.LBB1_47:                               ;   in Loop: Header=BB1_10 Depth=1
	v_lshl_add_u64 v[38:39], v[10:11], 0, s[30:31]
	global_store_dword v[38:39], v40, off
.LBB1_48:                               ;   in Loop: Header=BB1_10 Depth=1
	s_or_b64 exec, exec, s[16:17]
.LBB1_49:                               ;   in Loop: Header=BB1_10 Depth=1
	s_and_saveexec_b64 s[16:17], s[8:9]
	s_cbranch_execnz .LBB1_53
; %bb.50:                               ;   in Loop: Header=BB1_10 Depth=1
	s_or_b64 exec, exec, s[16:17]
	s_and_saveexec_b64 s[8:9], s[10:11]
	s_cbranch_execnz .LBB1_54
.LBB1_51:                               ;   in Loop: Header=BB1_10 Depth=1
	s_or_b64 exec, exec, s[8:9]
	s_and_saveexec_b64 s[8:9], s[12:13]
	s_cbranch_execnz .LBB1_55
.LBB1_52:                               ;   in Loop: Header=BB1_10 Depth=1
	s_or_b64 exec, exec, s[8:9]
	s_and_saveexec_b64 s[8:9], s[14:15]
	s_cbranch_execz .LBB1_9
	s_branch .LBB1_56
.LBB1_53:                               ;   in Loop: Header=BB1_10 Depth=1
	v_lshl_add_u64 v[38:39], v[6:7], 0, s[30:31]
	global_store_dword v[38:39], v43, off
	s_or_b64 exec, exec, s[16:17]
	s_and_saveexec_b64 s[8:9], s[10:11]
	s_cbranch_execz .LBB1_51
.LBB1_54:                               ;   in Loop: Header=BB1_10 Depth=1
	v_lshl_add_u64 v[38:39], v[30:31], 0, s[30:31]
	global_store_dword v[38:39], v41, off
	s_or_b64 exec, exec, s[8:9]
	s_and_saveexec_b64 s[8:9], s[12:13]
	s_cbranch_execz .LBB1_52
.LBB1_55:                               ;   in Loop: Header=BB1_10 Depth=1
	v_lshl_add_u64 v[38:39], v[20:21], 0, s[30:31]
	global_store_dword v[38:39], v42, off
	s_or_b64 exec, exec, s[8:9]
	s_and_saveexec_b64 s[8:9], s[14:15]
	s_cbranch_execz .LBB1_9
.LBB1_56:                               ;   in Loop: Header=BB1_10 Depth=1
	v_lshl_add_u64 v[38:39], v[12:13], 0, s[30:31]
	global_store_dword v[38:39], v44, off
	s_branch .LBB1_9
.LBB1_57:                               ;   in Loop: Header=BB1_10 Depth=1
	v_lshl_add_u64 v[46:47], v[4:5], 0, s[30:31]
	global_store_dword v[46:47], v37, off
	s_or_b64 exec, exec, s[16:17]
	s_and_saveexec_b64 s[16:17], s[10:11]
	s_cbranch_execz .LBB1_45
.LBB1_58:                               ;   in Loop: Header=BB1_10 Depth=1
	v_lshl_add_u64 v[46:47], v[28:29], 0, s[30:31]
	global_store_dword v[46:47], v38, off
	s_or_b64 exec, exec, s[16:17]
	s_and_saveexec_b64 s[16:17], s[12:13]
	s_cbranch_execz .LBB1_46
.LBB1_59:                               ;   in Loop: Header=BB1_10 Depth=1
	v_lshl_add_u64 v[46:47], v[18:19], 0, s[30:31]
	global_store_dword v[46:47], v39, off
	s_or_b64 exec, exec, s[16:17]
	s_and_saveexec_b64 s[16:17], s[14:15]
	s_cbranch_execnz .LBB1_47
	s_branch .LBB1_48
.LBB1_60:
	s_mov_b64 s[6:7], 0
.LBB1_61:
	s_andn2_b64 vcc, exec, s[6:7]
	s_cbranch_vccnz .LBB1_75
; %bb.62:
	v_mov_b32_e32 v13, 0
	v_lshlrev_b32_e32 v12, 2, v0
	v_cmp_gt_i64_e32 vcc, s[22:23], v[12:13]
	s_and_saveexec_b64 s[6:7], vcc
	s_cbranch_execz .LBB1_75
; %bb.63:
	s_load_dword s8, s[0:1], 0xc9c
	s_cmp_lg_u64 s[20:21], 0
	s_cselect_b64 s[6:7], -1, 0
	v_cndmask_b32_e64 v2, 0, 1, s[6:7]
	v_mov_b32_e32 v1, v13
	s_waitcnt lgkmcnt(0)
	s_and_b32 s14, s8, 0xffff
	v_add_lshl_u32 v12, v0, s14, 2
	s_mov_b64 s[10:11], 0
	s_mov_b32 s13, 0
	v_cmp_neq_f32_e64 s[0:1], 0, v33
	v_sub_f32_e32 v22, 1.0, v35
	v_add_u32_e32 v23, s14, v0
	s_lshl_b32 s12, s14, 2
	v_cmp_ne_u32_e64 s[6:7], 1, v2
	s_movk_i32 s15, 0x3fff
	v_mov_b64_e32 v[14:15], v[12:13]
	v_mov_b32_e32 v12, v0
	s_branch .LBB1_65
.LBB1_64:                               ;   in Loop: Header=BB1_65 Depth=1
	v_cmp_le_u64_e32 vcc, s[22:23], v[14:15]
	v_cmp_lt_u32_e64 s[8:9], s15, v23
	s_or_b64 s[8:9], vcc, s[8:9]
	v_add_u32_e32 v12, s14, v12
	s_and_b64 s[8:9], exec, s[8:9]
	v_add_u32_e32 v23, s14, v23
	v_lshl_add_u64 v[14:15], v[14:15], 0, s[12:13]
	s_or_b64 s[10:11], s[8:9], s[10:11]
	v_mov_b64_e32 v[0:1], v[12:13]
	global_store_dwordx4 v[16:17], v[8:11], off
	s_andn2_b64 exec, exec, s[10:11]
	s_cbranch_execz .LBB1_75
.LBB1_65:                               ; =>This Inner Loop Header: Depth=1
	v_lshlrev_b64 v[8:9], 4, v[0:1]
	v_lshl_add_u64 v[20:21], s[24:25], 0, v[8:9]
	v_lshl_add_u64 v[18:19], s[26:27], 0, v[8:9]
	;; [unrolled: 1-line block ×3, first 2 shown]
	global_load_dwordx4 v[4:7], v[20:21], off
	global_load_dwordx4 v[0:3], v[18:19], off
	;; [unrolled: 1-line block ×3, first 2 shown]
	s_and_b64 vcc, exec, s[6:7]
	s_cbranch_vccnz .LBB1_67
; %bb.66:                               ;   in Loop: Header=BB1_65 Depth=1
	global_load_dword v24, v13, s[20:21]
	s_waitcnt vmcnt(0)
	v_div_scale_f32 v25, s[8:9], v24, v24, v0
	v_rcp_f32_e32 v26, v25
	v_div_scale_f32 v27, vcc, v0, v24, v0
	v_fma_f32 v28, -v25, v26, 1.0
	v_fmac_f32_e32 v26, v28, v26
	v_mul_f32_e32 v28, v27, v26
	v_fma_f32 v29, -v25, v28, v27
	v_fmac_f32_e32 v28, v29, v26
	v_fma_f32 v25, -v25, v28, v27
	v_div_fmas_f32 v25, v25, v26, v28
	v_div_fixup_f32 v0, v25, v24, v0
.LBB1_67:                               ;   in Loop: Header=BB1_65 Depth=1
	s_and_b64 vcc, exec, s[6:7]
	s_cbranch_vccnz .LBB1_69
; %bb.68:                               ;   in Loop: Header=BB1_65 Depth=1
	global_load_dword v24, v13, s[20:21]
	s_waitcnt vmcnt(0)
	v_div_scale_f32 v25, s[8:9], v24, v24, v1
	v_rcp_f32_e32 v26, v25
	v_div_scale_f32 v27, vcc, v1, v24, v1
	v_fma_f32 v28, -v25, v26, 1.0
	v_fmac_f32_e32 v26, v28, v26
	v_mul_f32_e32 v28, v27, v26
	v_fma_f32 v29, -v25, v28, v27
	v_fmac_f32_e32 v28, v29, v26
	v_fma_f32 v25, -v25, v28, v27
	v_div_fmas_f32 v25, v25, v26, v28
	v_div_fixup_f32 v1, v25, v24, v1
.LBB1_69:                               ;   in Loop: Header=BB1_65 Depth=1
	;; [unrolled: 17-line block ×4, first 2 shown]
	s_waitcnt vmcnt(1)
	v_cndmask_b32_e64 v24, v2, -v2, s[18:19]
	v_fma_f32 v25, v6, v33, v24
	v_cndmask_b32_e64 v24, v24, v25, s[0:1]
	v_mul_f32_e32 v25, v22, v24
	s_waitcnt vmcnt(0)
	v_fmac_f32_e32 v25, v10, v34
	v_cndmask_b32_e64 v10, v25, v24, s[2:3]
	v_fmac_f32_e32 v24, v10, v34
	v_cndmask_b32_e64 v24, v10, v24, s[4:5]
	v_fma_f32 v6, -v32, v24, v6
	v_cndmask_b32_e64 v24, v1, -v1, s[18:19]
	v_fma_f32 v25, v5, v33, v24
	v_cndmask_b32_e64 v24, v24, v25, s[0:1]
	v_mul_f32_e32 v25, v22, v24
	v_fmac_f32_e32 v25, v9, v34
	v_cndmask_b32_e64 v9, v25, v24, s[2:3]
	v_fmac_f32_e32 v24, v9, v34
	v_cndmask_b32_e64 v24, v9, v24, s[4:5]
	v_fma_f32 v5, -v32, v24, v5
	v_cndmask_b32_e64 v24, v0, -v0, s[18:19]
	v_fma_f32 v25, v4, v33, v24
	v_cndmask_b32_e64 v24, v24, v25, s[0:1]
	v_mul_f32_e32 v25, v22, v24
	;; [unrolled: 9-line block ×3, first 2 shown]
	v_fmac_f32_e32 v25, v11, v34
	v_cndmask_b32_e64 v11, v25, v24, s[2:3]
	v_fmac_f32_e32 v24, v11, v34
	v_cndmask_b32_e64 v24, v11, v24, s[4:5]
	v_fma_f32 v7, -v32, v24, v7
	s_and_b64 vcc, exec, s[6:7]
	global_store_dwordx4 v[20:21], v[4:7], off
	s_cbranch_vccnz .LBB1_64
; %bb.74:                               ;   in Loop: Header=BB1_65 Depth=1
	global_store_dwordx4 v[18:19], v[0:3], off
	s_branch .LBB1_64
.LBB1_75:
	s_endpgm
.LBB1_76:
                                        ; implicit-def: $sgpr8
	s_load_dword s14, s[2:3], 0x740
	v_mov_b32_e32 v32, s8
	s_branch .LBB1_5
	.section	.rodata,"a",@progbits
	.p2align	6, 0x0
	.amdhsa_kernel _ZN2at6native12_GLOBAL__N_125multi_tensor_apply_kernelINS1_18TensorListMetadataILi3EEENS1_19FusedSgdMathFunctorIfLi3EEEJddPfddbbbS7_S7_EEEvT_T0_DpT1_
		.amdhsa_group_segment_fixed_size 0
		.amdhsa_private_segment_fixed_size 0
		.amdhsa_kernarg_size 3472
		.amdhsa_user_sgpr_count 2
		.amdhsa_user_sgpr_dispatch_ptr 0
		.amdhsa_user_sgpr_queue_ptr 0
		.amdhsa_user_sgpr_kernarg_segment_ptr 1
		.amdhsa_user_sgpr_dispatch_id 0
		.amdhsa_user_sgpr_kernarg_preload_length 0
		.amdhsa_user_sgpr_kernarg_preload_offset 0
		.amdhsa_user_sgpr_private_segment_size 0
		.amdhsa_uses_dynamic_stack 0
		.amdhsa_enable_private_segment 0
		.amdhsa_system_sgpr_workgroup_id_x 1
		.amdhsa_system_sgpr_workgroup_id_y 0
		.amdhsa_system_sgpr_workgroup_id_z 0
		.amdhsa_system_sgpr_workgroup_info 0
		.amdhsa_system_vgpr_workitem_id 0
		.amdhsa_next_free_vgpr 55
		.amdhsa_next_free_sgpr 46
		.amdhsa_accum_offset 56
		.amdhsa_reserve_vcc 1
		.amdhsa_float_round_mode_32 0
		.amdhsa_float_round_mode_16_64 0
		.amdhsa_float_denorm_mode_32 3
		.amdhsa_float_denorm_mode_16_64 3
		.amdhsa_dx10_clamp 1
		.amdhsa_ieee_mode 1
		.amdhsa_fp16_overflow 0
		.amdhsa_tg_split 0
		.amdhsa_exception_fp_ieee_invalid_op 0
		.amdhsa_exception_fp_denorm_src 0
		.amdhsa_exception_fp_ieee_div_zero 0
		.amdhsa_exception_fp_ieee_overflow 0
		.amdhsa_exception_fp_ieee_underflow 0
		.amdhsa_exception_fp_ieee_inexact 0
		.amdhsa_exception_int_div_zero 0
	.end_amdhsa_kernel
	.section	.text._ZN2at6native12_GLOBAL__N_125multi_tensor_apply_kernelINS1_18TensorListMetadataILi3EEENS1_19FusedSgdMathFunctorIfLi3EEEJddPfddbbbS7_S7_EEEvT_T0_DpT1_,"axG",@progbits,_ZN2at6native12_GLOBAL__N_125multi_tensor_apply_kernelINS1_18TensorListMetadataILi3EEENS1_19FusedSgdMathFunctorIfLi3EEEJddPfddbbbS7_S7_EEEvT_T0_DpT1_,comdat
.Lfunc_end1:
	.size	_ZN2at6native12_GLOBAL__N_125multi_tensor_apply_kernelINS1_18TensorListMetadataILi3EEENS1_19FusedSgdMathFunctorIfLi3EEEJddPfddbbbS7_S7_EEEvT_T0_DpT1_, .Lfunc_end1-_ZN2at6native12_GLOBAL__N_125multi_tensor_apply_kernelINS1_18TensorListMetadataILi3EEENS1_19FusedSgdMathFunctorIfLi3EEEJddPfddbbbS7_S7_EEEvT_T0_DpT1_
                                        ; -- End function
	.set _ZN2at6native12_GLOBAL__N_125multi_tensor_apply_kernelINS1_18TensorListMetadataILi3EEENS1_19FusedSgdMathFunctorIfLi3EEEJddPfddbbbS7_S7_EEEvT_T0_DpT1_.num_vgpr, 55
	.set _ZN2at6native12_GLOBAL__N_125multi_tensor_apply_kernelINS1_18TensorListMetadataILi3EEENS1_19FusedSgdMathFunctorIfLi3EEEJddPfddbbbS7_S7_EEEvT_T0_DpT1_.num_agpr, 0
	.set _ZN2at6native12_GLOBAL__N_125multi_tensor_apply_kernelINS1_18TensorListMetadataILi3EEENS1_19FusedSgdMathFunctorIfLi3EEEJddPfddbbbS7_S7_EEEvT_T0_DpT1_.numbered_sgpr, 46
	.set _ZN2at6native12_GLOBAL__N_125multi_tensor_apply_kernelINS1_18TensorListMetadataILi3EEENS1_19FusedSgdMathFunctorIfLi3EEEJddPfddbbbS7_S7_EEEvT_T0_DpT1_.num_named_barrier, 0
	.set _ZN2at6native12_GLOBAL__N_125multi_tensor_apply_kernelINS1_18TensorListMetadataILi3EEENS1_19FusedSgdMathFunctorIfLi3EEEJddPfddbbbS7_S7_EEEvT_T0_DpT1_.private_seg_size, 0
	.set _ZN2at6native12_GLOBAL__N_125multi_tensor_apply_kernelINS1_18TensorListMetadataILi3EEENS1_19FusedSgdMathFunctorIfLi3EEEJddPfddbbbS7_S7_EEEvT_T0_DpT1_.uses_vcc, 1
	.set _ZN2at6native12_GLOBAL__N_125multi_tensor_apply_kernelINS1_18TensorListMetadataILi3EEENS1_19FusedSgdMathFunctorIfLi3EEEJddPfddbbbS7_S7_EEEvT_T0_DpT1_.uses_flat_scratch, 0
	.set _ZN2at6native12_GLOBAL__N_125multi_tensor_apply_kernelINS1_18TensorListMetadataILi3EEENS1_19FusedSgdMathFunctorIfLi3EEEJddPfddbbbS7_S7_EEEvT_T0_DpT1_.has_dyn_sized_stack, 0
	.set _ZN2at6native12_GLOBAL__N_125multi_tensor_apply_kernelINS1_18TensorListMetadataILi3EEENS1_19FusedSgdMathFunctorIfLi3EEEJddPfddbbbS7_S7_EEEvT_T0_DpT1_.has_recursion, 0
	.set _ZN2at6native12_GLOBAL__N_125multi_tensor_apply_kernelINS1_18TensorListMetadataILi3EEENS1_19FusedSgdMathFunctorIfLi3EEEJddPfddbbbS7_S7_EEEvT_T0_DpT1_.has_indirect_call, 0
	.section	.AMDGPU.csdata,"",@progbits
; Kernel info:
; codeLenInByte = 3132
; TotalNumSgprs: 52
; NumVgprs: 55
; NumAgprs: 0
; TotalNumVgprs: 55
; ScratchSize: 0
; MemoryBound: 0
; FloatMode: 240
; IeeeMode: 1
; LDSByteSize: 0 bytes/workgroup (compile time only)
; SGPRBlocks: 6
; VGPRBlocks: 6
; NumSGPRsForWavesPerEU: 52
; NumVGPRsForWavesPerEU: 55
; AccumOffset: 56
; Occupancy: 8
; WaveLimiterHint : 0
; COMPUTE_PGM_RSRC2:SCRATCH_EN: 0
; COMPUTE_PGM_RSRC2:USER_SGPR: 2
; COMPUTE_PGM_RSRC2:TRAP_HANDLER: 0
; COMPUTE_PGM_RSRC2:TGID_X_EN: 1
; COMPUTE_PGM_RSRC2:TGID_Y_EN: 0
; COMPUTE_PGM_RSRC2:TGID_Z_EN: 0
; COMPUTE_PGM_RSRC2:TIDIG_COMP_CNT: 0
; COMPUTE_PGM_RSRC3_GFX90A:ACCUM_OFFSET: 13
; COMPUTE_PGM_RSRC3_GFX90A:TG_SPLIT: 0
	.section	.text._ZN2at6native12_GLOBAL__N_125multi_tensor_apply_kernelINS1_18TensorListMetadataILi3EEENS1_19FusedSgdMathFunctorIN3c104HalfELi3EEEJddPfddbbbS9_S9_EEEvT_T0_DpT1_,"axG",@progbits,_ZN2at6native12_GLOBAL__N_125multi_tensor_apply_kernelINS1_18TensorListMetadataILi3EEENS1_19FusedSgdMathFunctorIN3c104HalfELi3EEEJddPfddbbbS9_S9_EEEvT_T0_DpT1_,comdat
	.globl	_ZN2at6native12_GLOBAL__N_125multi_tensor_apply_kernelINS1_18TensorListMetadataILi3EEENS1_19FusedSgdMathFunctorIN3c104HalfELi3EEEJddPfddbbbS9_S9_EEEvT_T0_DpT1_ ; -- Begin function _ZN2at6native12_GLOBAL__N_125multi_tensor_apply_kernelINS1_18TensorListMetadataILi3EEENS1_19FusedSgdMathFunctorIN3c104HalfELi3EEEJddPfddbbbS9_S9_EEEvT_T0_DpT1_
	.p2align	8
	.type	_ZN2at6native12_GLOBAL__N_125multi_tensor_apply_kernelINS1_18TensorListMetadataILi3EEENS1_19FusedSgdMathFunctorIN3c104HalfELi3EEEJddPfddbbbS9_S9_EEEvT_T0_DpT1_,@function
_ZN2at6native12_GLOBAL__N_125multi_tensor_apply_kernelINS1_18TensorListMetadataILi3EEENS1_19FusedSgdMathFunctorIN3c104HalfELi3EEEJddPfddbbbS9_S9_EEEvT_T0_DpT1_: ; @_ZN2at6native12_GLOBAL__N_125multi_tensor_apply_kernelINS1_18TensorListMetadataILi3EEENS1_19FusedSgdMathFunctorIN3c104HalfELi3EEEJddPfddbbbS9_S9_EEEvT_T0_DpT1_
; %bb.0:
	s_load_dwordx4 s[20:23], s[0:1], 0xc80
	s_waitcnt lgkmcnt(0)
	s_cmp_eq_u64 s[22:23], 0
	s_cselect_b64 s[4:5], -1, 0
	s_and_b64 vcc, exec, s[4:5]
	s_cbranch_vccnz .LBB2_2
; %bb.1:
	s_load_dword s3, s[22:23], 0x0
	s_waitcnt lgkmcnt(0)
	v_cmp_neq_f32_e64 s[4:5], s3, 1.0
.LBB2_2:
	s_andn2_b64 vcc, exec, s[4:5]
	s_cbranch_vccnz .LBB2_75
; %bb.3:
	v_mov_b32_e32 v1, s2
	global_load_ubyte v1, v1, s[0:1] offset:1536
	s_load_dwordx2 s[12:13], s[0:1], 0xc70
	s_load_dwordx8 s[4:11], s[0:1], 0xc50
	s_add_u32 s3, s0, s2
	s_mul_hi_u32 s14, s2, 3
	s_mul_i32 s2, s2, 3
	s_addc_u32 s15, s1, 0
	s_add_u32 s2, s3, s2
	s_addc_u32 s3, s15, s14
	s_waitcnt lgkmcnt(0)
	s_cmp_eq_u64 s[8:9], 0
	s_mov_b64 s[16:17], 0
	s_waitcnt vmcnt(0)
	v_readfirstlane_b32 s15, v1
	s_cbranch_scc1 .LBB2_76
; %bb.4:
	s_load_dword s8, s[8:9], 0x0
	s_nop 0
	s_load_dword s14, s[2:3], 0x740
	s_andn2_b64 vcc, exec, s[16:17]
	s_waitcnt lgkmcnt(0)
	v_mov_b32_e32 v32, s8
	s_cbranch_vccnz .LBB2_6
.LBB2_5:
	v_cvt_f32_f64_e32 v32, s[10:11]
.LBB2_6:
	s_load_dword s2, s[0:1], 0xc78
	v_cvt_f32_f64_e32 v33, s[4:5]
	v_cvt_f32_f64_e32 v34, s[6:7]
	;; [unrolled: 1-line block ×3, first 2 shown]
	s_waitcnt lgkmcnt(0)
	s_bitcmp1_b32 s2, 0
	s_cselect_b64 s[4:5], -1, 0
	s_bitcmp1_b32 s2, 8
	s_cselect_b64 s[18:19], -1, 0
	;; [unrolled: 2-line block ×3, first 2 shown]
	s_and_b32 s6, s15, 0xff
	s_lshl_b32 s22, s6, 3
	s_load_dwordx2 s[6:7], s[0:1], s22 offset:0x480
	s_ashr_i32 s15, s14, 31
	s_lshl_b64 s[16:17], s[14:15], 16
	s_load_dwordx2 s[8:9], s[0:1], s22 offset:0x0
	s_load_dwordx2 s[10:11], s[0:1], s22 offset:0x180
	;; [unrolled: 1-line block ×3, first 2 shown]
	s_waitcnt lgkmcnt(0)
	s_sub_u32 s22, s6, s16
	s_subb_u32 s23, s7, s17
	s_lshl_b64 s[30:31], s[14:15], 17
	s_add_u32 s24, s8, s30
	s_addc_u32 s25, s9, s31
	s_and_b32 s14, s24, 7
	s_add_u32 s26, s10, s30
	s_addc_u32 s27, s11, s31
	s_and_b32 s16, s26, 7
	s_mov_b32 s15, 0
	s_add_u32 s28, s12, s30
	s_addc_u32 s29, s13, s31
	s_and_b32 s34, s28, 7
	s_mov_b32 s35, s15
	s_and_b32 s6, s6, 3
	s_mov_b32 s7, s15
	s_mov_b32 s17, s15
	s_or_b64 s[6:7], s[6:7], s[34:35]
	s_or_b64 s[6:7], s[6:7], s[16:17]
	;; [unrolled: 1-line block ×3, first 2 shown]
	s_cmp_eq_u64 s[6:7], 0
	s_mov_b64 s[6:7], -1
	s_cbranch_scc1 .LBB2_61
; %bb.7:
	v_cmp_lt_i64_e64 s[6:7], s[22:23], 1
	s_and_b64 vcc, exec, s[6:7]
	s_cbranch_vccnz .LBB2_60
; %bb.8:
	s_load_dword s14, s[0:1], 0xc9c
	v_mov_b64_e32 v[2:3], 0x10000
	v_cmp_lt_i64_e32 vcc, s[22:23], v[2:3]
	s_and_b64 s[6:7], vcc, exec
	s_cselect_b32 s35, s23, 0
	s_cselect_b32 s34, s22, 0x10000
	s_waitcnt lgkmcnt(0)
	s_and_b32 s14, s14, 0xffff
	s_lshl_b32 s16, s14, 1
	v_mov_b32_e32 v1, 0
	s_cmp_lg_u64 s[20:21], 0
	s_cselect_b64 s[38:39], -1, 0
	s_lshl_b32 s40, s14, 2
	s_mov_b32 s41, s15
	v_lshlrev_b32_e32 v16, 1, v0
	v_mov_b32_e32 v17, v1
	v_lshl_add_u64 v[24:25], v[0:1], 0, s[14:15]
	s_mov_b32 s17, s15
	s_mul_i32 s44, s14, 3
	s_mov_b32 s45, s15
	v_mad_u64_u32 v[12:13], s[46:47], s14, 6, v[16:17]
	v_lshl_add_u64 v[20:21], s[40:41], 0, v[16:17]
	v_lshlrev_b32_e32 v30, 1, v24
	v_mov_b32_e32 v31, v1
	s_mov_b64 s[36:37], 0
	v_cmp_neq_f32_e64 s[6:7], 0, v33
	v_sub_f32_e32 v36, 1.0, v35
	v_lshl_add_u64 v[2:3], s[8:9], 0, v[16:17]
	s_lshl_b32 s42, s14, 3
	s_mov_b32 s43, s15
	v_lshl_add_u64 v[4:5], s[10:11], 0, v[16:17]
	v_lshl_add_u64 v[6:7], s[12:13], 0, v[16:17]
	;; [unrolled: 1-line block ×13, first 2 shown]
	s_branch .LBB2_10
.LBB2_9:                                ;   in Loop: Header=BB2_10 Depth=1
	s_or_b64 exec, exec, s[8:9]
	s_add_u32 s36, s36, s40
	s_addc_u32 s37, s37, 0
	v_mov_b64_e32 v[38:39], s[34:35]
	v_cmp_lt_i64_e32 vcc, s[36:37], v[38:39]
	v_lshl_add_u64 v[2:3], v[2:3], 0, s[42:43]
	v_lshl_add_u64 v[4:5], v[4:5], 0, s[42:43]
	;; [unrolled: 1-line block ×12, first 2 shown]
	s_cbranch_vccz .LBB2_60
.LBB2_10:                               ; =>This Inner Loop Header: Depth=1
	v_lshl_add_u64 v[38:39], v[0:1], 0, s[36:37]
	v_cmp_gt_i64_e64 s[8:9], s[34:35], v[38:39]
	v_mov_b32_e32 v41, 0
	v_mov_b32_e32 v37, 0
	v_mov_b32_e32 v40, 0
	s_and_saveexec_b64 s[10:11], s[8:9]
	s_cbranch_execz .LBB2_12
; %bb.11:                               ;   in Loop: Header=BB2_10 Depth=1
	v_lshl_add_u64 v[38:39], v[2:3], 0, s[30:31]
	global_load_ushort v40, v[38:39], off
	v_lshl_add_u64 v[38:39], v[4:5], 0, s[30:31]
	global_load_ushort v37, v[38:39], off
	s_waitcnt vmcnt(1)
	v_cvt_f32_f16_e32 v40, v40
.LBB2_12:                               ;   in Loop: Header=BB2_10 Depth=1
	s_or_b64 exec, exec, s[10:11]
	s_and_saveexec_b64 s[10:11], s[8:9]
	s_cbranch_execz .LBB2_14
; %bb.13:                               ;   in Loop: Header=BB2_10 Depth=1
	v_lshl_add_u64 v[38:39], v[6:7], 0, s[30:31]
	global_load_ushort v38, v[38:39], off
	s_waitcnt vmcnt(0)
	v_cvt_f32_f16_e32 v41, v38
.LBB2_14:                               ;   in Loop: Header=BB2_10 Depth=1
	s_or_b64 exec, exec, s[10:11]
	v_lshl_add_u64 v[38:39], v[24:25], 0, s[36:37]
	v_cmp_gt_i64_e64 s[10:11], s[34:35], v[38:39]
	v_mov_b32_e32 v42, 0
	v_mov_b32_e32 v44, 0
	v_mov_b32_e32 v38, 0
	s_and_saveexec_b64 s[12:13], s[10:11]
	s_cbranch_execz .LBB2_16
; %bb.15:                               ;   in Loop: Header=BB2_10 Depth=1
	v_lshl_add_u64 v[38:39], v[26:27], 0, s[30:31]
	global_load_ushort v42, v[38:39], off
	v_lshl_add_u64 v[38:39], v[28:29], 0, s[30:31]
	global_load_ushort v38, v[38:39], off
	s_waitcnt vmcnt(1)
	v_cvt_f32_f16_e32 v42, v42
.LBB2_16:                               ;   in Loop: Header=BB2_10 Depth=1
	s_or_b64 exec, exec, s[12:13]
	s_and_saveexec_b64 s[12:13], s[10:11]
	s_cbranch_execz .LBB2_18
; %bb.17:                               ;   in Loop: Header=BB2_10 Depth=1
	v_lshl_add_u64 v[44:45], v[30:31], 0, s[30:31]
	global_load_ushort v39, v[44:45], off
	s_waitcnt vmcnt(0)
	v_cvt_f32_f16_e32 v44, v39
.LBB2_18:                               ;   in Loop: Header=BB2_10 Depth=1
	s_or_b64 exec, exec, s[12:13]
	;; [unrolled: 25-line block ×4, first 2 shown]
	s_waitcnt vmcnt(0)
	v_cvt_f32_f16_e32 v49, v37
	v_cndmask_b32_e64 v50, 0, 1, s[38:39]
	v_cmp_ne_u32_e64 s[16:17], 1, v50
	s_andn2_b64 vcc, exec, s[38:39]
	s_cbranch_vccnz .LBB2_28
; %bb.27:                               ;   in Loop: Header=BB2_10 Depth=1
	s_load_dword s33, s[20:21], 0x0
	s_waitcnt lgkmcnt(0)
	v_div_scale_f32 v37, s[44:45], s33, s33, v49
	v_rcp_f32_e32 v50, v37
	v_div_scale_f32 v51, vcc, v49, s33, v49
	v_fma_f32 v52, -v37, v50, 1.0
	v_fmac_f32_e32 v50, v52, v50
	v_mul_f32_e32 v52, v51, v50
	v_fma_f32 v53, -v37, v52, v51
	v_fmac_f32_e32 v52, v53, v50
	v_fma_f32 v37, -v37, v52, v51
	v_div_fmas_f32 v37, v37, v50, v52
	v_div_fixup_f32 v49, v37, s33, v49
	v_cvt_f16_f32_e32 v37, v49
.LBB2_28:                               ;   in Loop: Header=BB2_10 Depth=1
	v_cvt_f32_f16_e32 v50, v38
	s_and_b64 vcc, exec, s[16:17]
	s_cbranch_vccnz .LBB2_30
; %bb.29:                               ;   in Loop: Header=BB2_10 Depth=1
	s_load_dword s33, s[20:21], 0x0
	s_waitcnt lgkmcnt(0)
	v_div_scale_f32 v38, s[44:45], s33, s33, v50
	v_rcp_f32_e32 v51, v38
	v_div_scale_f32 v52, vcc, v50, s33, v50
	v_fma_f32 v53, -v38, v51, 1.0
	v_fmac_f32_e32 v51, v53, v51
	v_mul_f32_e32 v53, v52, v51
	v_fma_f32 v54, -v38, v53, v52
	v_fmac_f32_e32 v53, v54, v51
	v_fma_f32 v38, -v38, v53, v52
	v_div_fmas_f32 v38, v38, v51, v53
	v_div_fixup_f32 v50, v38, s33, v50
	v_cvt_f16_f32_e32 v38, v50
.LBB2_30:                               ;   in Loop: Header=BB2_10 Depth=1
	v_cvt_f32_f16_e32 v51, v39
	s_and_b64 vcc, exec, s[16:17]
	;; [unrolled: 19-line block ×3, first 2 shown]
	s_cbranch_vccnz .LBB2_34
; %bb.33:                               ;   in Loop: Header=BB2_10 Depth=1
	s_load_dword s33, s[20:21], 0x0
	s_waitcnt lgkmcnt(0)
	v_div_scale_f32 v43, s[44:45], s33, s33, v52
	v_rcp_f32_e32 v53, v43
	v_div_scale_f32 v54, vcc, v52, s33, v52
	v_fma_f32 v55, -v43, v53, 1.0
	v_fmac_f32_e32 v53, v55, v53
	v_mul_f32_e32 v55, v54, v53
	v_fma_f32 v56, -v43, v55, v54
	v_fmac_f32_e32 v55, v56, v53
	v_fma_f32 v43, -v43, v55, v54
	v_div_fmas_f32 v43, v43, v53, v55
	v_div_fixup_f32 v52, v43, s33, v52
	v_cvt_f16_f32_e32 v43, v52
.LBB2_34:                               ;   in Loop: Header=BB2_10 Depth=1
	v_cndmask_b32_e64 v49, v49, -v49, s[18:19]
	v_fma_f32 v53, v40, v33, v49
	v_cndmask_b32_e64 v49, v49, v53, s[6:7]
	v_mul_f32_e32 v53, v36, v49
	v_fmac_f32_e32 v53, v41, v34
	v_cndmask_b32_e64 v41, v53, v49, s[2:3]
	s_and_saveexec_b64 s[44:45], s[8:9]
	s_cbranch_execz .LBB2_36
; %bb.35:                               ;   in Loop: Header=BB2_10 Depth=1
	v_fmac_f32_e32 v49, v41, v34
	v_cndmask_b32_e64 v49, v41, v49, s[4:5]
	v_fma_mixlo_f16 v40, -v32, v49, v40
	v_lshl_add_u64 v[54:55], v[2:3], 0, s[30:31]
	global_store_short v[54:55], v40, off
.LBB2_36:                               ;   in Loop: Header=BB2_10 Depth=1
	s_or_b64 exec, exec, s[44:45]
	v_cndmask_b32_e64 v40, v50, -v50, s[18:19]
	v_fma_f32 v49, v42, v33, v40
	v_cndmask_b32_e64 v49, v40, v49, s[6:7]
	v_mul_f32_e32 v40, v36, v49
	v_fmac_f32_e32 v40, v44, v34
	v_cndmask_b32_e64 v40, v40, v49, s[2:3]
	s_and_saveexec_b64 s[44:45], s[10:11]
	s_cbranch_execz .LBB2_38
; %bb.37:                               ;   in Loop: Header=BB2_10 Depth=1
	v_fmac_f32_e32 v49, v40, v34
	v_cndmask_b32_e64 v44, v40, v49, s[4:5]
	v_fma_mixlo_f16 v42, -v32, v44, v42
	v_lshl_add_u64 v[54:55], v[26:27], 0, s[30:31]
	global_store_short v[54:55], v42, off
.LBB2_38:                               ;   in Loop: Header=BB2_10 Depth=1
	s_or_b64 exec, exec, s[44:45]
	;; [unrolled: 16-line block ×4, first 2 shown]
	s_and_b64 vcc, exec, s[16:17]
	s_cbranch_vccnz .LBB2_49
; %bb.43:                               ;   in Loop: Header=BB2_10 Depth=1
	s_and_saveexec_b64 s[16:17], s[8:9]
	s_cbranch_execnz .LBB2_57
; %bb.44:                               ;   in Loop: Header=BB2_10 Depth=1
	s_or_b64 exec, exec, s[16:17]
	s_and_saveexec_b64 s[16:17], s[10:11]
	s_cbranch_execnz .LBB2_58
.LBB2_45:                               ;   in Loop: Header=BB2_10 Depth=1
	s_or_b64 exec, exec, s[16:17]
	s_and_saveexec_b64 s[16:17], s[12:13]
	s_cbranch_execnz .LBB2_59
.LBB2_46:                               ;   in Loop: Header=BB2_10 Depth=1
	s_or_b64 exec, exec, s[16:17]
	s_and_saveexec_b64 s[16:17], s[14:15]
	s_cbranch_execz .LBB2_48
.LBB2_47:                               ;   in Loop: Header=BB2_10 Depth=1
	v_lshl_add_u64 v[38:39], v[10:11], 0, s[30:31]
	global_store_short v[38:39], v43, off
.LBB2_48:                               ;   in Loop: Header=BB2_10 Depth=1
	s_or_b64 exec, exec, s[16:17]
.LBB2_49:                               ;   in Loop: Header=BB2_10 Depth=1
	s_and_saveexec_b64 s[16:17], s[8:9]
	s_cbranch_execnz .LBB2_53
; %bb.50:                               ;   in Loop: Header=BB2_10 Depth=1
	s_or_b64 exec, exec, s[16:17]
	s_and_saveexec_b64 s[8:9], s[10:11]
	s_cbranch_execnz .LBB2_54
.LBB2_51:                               ;   in Loop: Header=BB2_10 Depth=1
	s_or_b64 exec, exec, s[8:9]
	s_and_saveexec_b64 s[8:9], s[12:13]
	s_cbranch_execnz .LBB2_55
.LBB2_52:                               ;   in Loop: Header=BB2_10 Depth=1
	s_or_b64 exec, exec, s[8:9]
	s_and_saveexec_b64 s[8:9], s[14:15]
	s_cbranch_execz .LBB2_9
	s_branch .LBB2_56
.LBB2_53:                               ;   in Loop: Header=BB2_10 Depth=1
	v_cvt_f16_f32_e32 v37, v41
	v_lshl_add_u64 v[38:39], v[6:7], 0, s[30:31]
	global_store_short v[38:39], v37, off
	s_or_b64 exec, exec, s[16:17]
	s_and_saveexec_b64 s[8:9], s[10:11]
	s_cbranch_execz .LBB2_51
.LBB2_54:                               ;   in Loop: Header=BB2_10 Depth=1
	v_cvt_f16_f32_e32 v37, v40
	v_lshl_add_u64 v[38:39], v[30:31], 0, s[30:31]
	global_store_short v[38:39], v37, off
	s_or_b64 exec, exec, s[8:9]
	s_and_saveexec_b64 s[8:9], s[12:13]
	s_cbranch_execz .LBB2_52
.LBB2_55:                               ;   in Loop: Header=BB2_10 Depth=1
	v_cvt_f16_f32_e32 v37, v42
	v_lshl_add_u64 v[38:39], v[20:21], 0, s[30:31]
	global_store_short v[38:39], v37, off
	s_or_b64 exec, exec, s[8:9]
	s_and_saveexec_b64 s[8:9], s[14:15]
	s_cbranch_execz .LBB2_9
.LBB2_56:                               ;   in Loop: Header=BB2_10 Depth=1
	v_cvt_f16_f32_e32 v37, v44
	v_lshl_add_u64 v[38:39], v[12:13], 0, s[30:31]
	global_store_short v[38:39], v37, off
	s_branch .LBB2_9
.LBB2_57:                               ;   in Loop: Header=BB2_10 Depth=1
	v_lshl_add_u64 v[46:47], v[4:5], 0, s[30:31]
	global_store_short v[46:47], v37, off
	s_or_b64 exec, exec, s[16:17]
	s_and_saveexec_b64 s[16:17], s[10:11]
	s_cbranch_execz .LBB2_45
.LBB2_58:                               ;   in Loop: Header=BB2_10 Depth=1
	v_lshl_add_u64 v[46:47], v[28:29], 0, s[30:31]
	global_store_short v[46:47], v38, off
	s_or_b64 exec, exec, s[16:17]
	s_and_saveexec_b64 s[16:17], s[12:13]
	s_cbranch_execz .LBB2_46
.LBB2_59:                               ;   in Loop: Header=BB2_10 Depth=1
	v_lshl_add_u64 v[46:47], v[18:19], 0, s[30:31]
	global_store_short v[46:47], v39, off
	s_or_b64 exec, exec, s[16:17]
	s_and_saveexec_b64 s[16:17], s[14:15]
	s_cbranch_execnz .LBB2_47
	s_branch .LBB2_48
.LBB2_60:
	s_mov_b64 s[6:7], 0
.LBB2_61:
	s_andn2_b64 vcc, exec, s[6:7]
	s_cbranch_vccnz .LBB2_75
; %bb.62:
	v_mov_b32_e32 v3, 0
	v_lshlrev_b32_e32 v2, 2, v0
	v_cmp_gt_i64_e32 vcc, s[22:23], v[2:3]
	s_and_saveexec_b64 s[6:7], vcc
	s_cbranch_execz .LBB2_75
; %bb.63:
	s_load_dword s8, s[0:1], 0xc9c
	s_cmp_lg_u64 s[20:21], 0
	s_cselect_b64 s[6:7], -1, 0
	v_cndmask_b32_e64 v4, 0, 1, s[6:7]
	v_mov_b32_e32 v1, v3
	s_waitcnt lgkmcnt(0)
	s_and_b32 s14, s8, 0xffff
	v_add_lshl_u32 v2, v0, s14, 2
	s_mov_b64 s[10:11], 0
	s_mov_b32 s13, 0
	v_cmp_neq_f32_e64 s[0:1], 0, v33
	v_sub_f32_e32 v16, 1.0, v35
	v_add_u32_e32 v17, s14, v0
	s_lshl_b32 s12, s14, 2
	v_cmp_ne_u32_e64 s[6:7], 1, v4
	s_mov_b32 s15, 0x5040100
	s_movk_i32 s16, 0x3fff
	v_mov_b64_e32 v[4:5], v[2:3]
	v_mov_b32_e32 v2, v0
	s_branch .LBB2_65
.LBB2_64:                               ;   in Loop: Header=BB2_65 Depth=1
	v_cmp_le_u64_e32 vcc, s[22:23], v[4:5]
	v_cmp_lt_u32_e64 s[8:9], s16, v17
	s_or_b64 s[8:9], vcc, s[8:9]
	v_cvt_pk_f16_f32 v7, v22, v13
	v_cvt_pk_f16_f32 v6, v12, v20
	v_add_u32_e32 v2, s14, v2
	s_and_b64 s[8:9], exec, s[8:9]
	global_store_dwordx2 v[0:1], v[6:7], off
	v_add_u32_e32 v17, s14, v17
	v_lshl_add_u64 v[4:5], v[4:5], 0, s[12:13]
	s_or_b64 s[10:11], s[8:9], s[10:11]
	v_mov_b64_e32 v[0:1], v[2:3]
	s_andn2_b64 exec, exec, s[10:11]
	s_cbranch_execz .LBB2_75
.LBB2_65:                               ; =>This Inner Loop Header: Depth=1
	v_lshlrev_b64 v[0:1], 3, v[0:1]
	v_lshl_add_u64 v[6:7], s[26:27], 0, v[0:1]
	global_load_dwordx2 v[14:15], v[6:7], off
	v_lshl_add_u64 v[8:9], s[24:25], 0, v[0:1]
	v_lshl_add_u64 v[0:1], s[28:29], 0, v[0:1]
	global_load_dwordx2 v[10:11], v[8:9], off
	global_load_dwordx2 v[12:13], v[0:1], off
	s_and_b64 vcc, exec, s[6:7]
	s_waitcnt vmcnt(2)
	v_cvt_f32_f16_e32 v19, v14
	s_cbranch_vccnz .LBB2_73
; %bb.66:                               ;   in Loop: Header=BB2_65 Depth=1
	global_load_dword v18, v3, s[20:21]
	s_waitcnt vmcnt(0)
	v_div_scale_f32 v20, s[8:9], v18, v18, v19
	v_rcp_f32_e32 v21, v20
	v_div_scale_f32 v22, vcc, v19, v18, v19
	v_fma_f32 v23, -v20, v21, 1.0
	v_fmac_f32_e32 v21, v23, v21
	v_mul_f32_e32 v23, v22, v21
	v_fma_f32 v24, -v20, v23, v22
	v_fmac_f32_e32 v23, v24, v21
	v_fma_f32 v20, -v20, v23, v22
	v_div_fmas_f32 v20, v20, v21, v23
	v_div_fixup_f32 v19, v20, v18, v19
	v_cvt_f16_f32_e32 v18, v19
	v_lshrrev_b32_e32 v14, 16, v14
	v_cvt_f32_f16_e32 v20, v14
	s_and_b64 vcc, exec, s[6:7]
	s_cbranch_vccnz .LBB2_68
.LBB2_67:                               ;   in Loop: Header=BB2_65 Depth=1
	global_load_dword v14, v3, s[20:21]
	s_waitcnt vmcnt(0)
	v_div_scale_f32 v21, s[8:9], v14, v14, v20
	v_rcp_f32_e32 v22, v21
	v_div_scale_f32 v23, vcc, v20, v14, v20
	v_fma_f32 v24, -v21, v22, 1.0
	v_fmac_f32_e32 v22, v24, v22
	v_mul_f32_e32 v24, v23, v22
	v_fma_f32 v25, -v21, v24, v23
	v_fmac_f32_e32 v24, v25, v22
	v_fma_f32 v21, -v21, v24, v23
	v_div_fmas_f32 v21, v21, v22, v24
	v_div_fixup_f32 v20, v21, v14, v20
	v_cvt_f16_f32_e32 v14, v20
.LBB2_68:                               ;   in Loop: Header=BB2_65 Depth=1
	v_cvt_f32_f16_e32 v22, v15
	s_and_b64 vcc, exec, s[6:7]
	s_cbranch_vccnz .LBB2_74
; %bb.69:                               ;   in Loop: Header=BB2_65 Depth=1
	global_load_dword v21, v3, s[20:21]
	s_waitcnt vmcnt(0)
	v_div_scale_f32 v23, s[8:9], v21, v21, v22
	v_rcp_f32_e32 v24, v23
	v_div_scale_f32 v25, vcc, v22, v21, v22
	v_fma_f32 v26, -v23, v24, 1.0
	v_fmac_f32_e32 v24, v26, v24
	v_mul_f32_e32 v26, v25, v24
	v_fma_f32 v27, -v23, v26, v25
	v_fmac_f32_e32 v26, v27, v24
	v_fma_f32 v23, -v23, v26, v25
	v_div_fmas_f32 v23, v23, v24, v26
	v_div_fixup_f32 v22, v23, v21, v22
	v_cvt_f16_f32_e32 v21, v22
	v_lshrrev_b32_e32 v15, 16, v15
	v_cvt_f32_f16_e32 v23, v15
	s_and_b64 vcc, exec, s[6:7]
	s_cbranch_vccnz .LBB2_71
.LBB2_70:                               ;   in Loop: Header=BB2_65 Depth=1
	global_load_dword v15, v3, s[20:21]
	s_waitcnt vmcnt(0)
	v_div_scale_f32 v24, s[8:9], v15, v15, v23
	v_rcp_f32_e32 v25, v24
	v_div_scale_f32 v26, vcc, v23, v15, v23
	v_fma_f32 v27, -v24, v25, 1.0
	v_fmac_f32_e32 v25, v27, v25
	v_mul_f32_e32 v27, v26, v25
	v_fma_f32 v28, -v24, v27, v26
	v_fmac_f32_e32 v27, v28, v25
	v_fma_f32 v24, -v24, v27, v26
	v_div_fmas_f32 v24, v24, v25, v27
	v_div_fixup_f32 v23, v24, v15, v23
	v_cvt_f16_f32_e32 v15, v23
.LBB2_71:                               ;   in Loop: Header=BB2_65 Depth=1
	v_cndmask_b32_e64 v22, v22, -v22, s[18:19]
	s_waitcnt vmcnt(1)
	v_fma_mix_f32 v24, v33, v11, v22 op_sel_hi:[0,1,0]
	v_cndmask_b32_e64 v24, v22, v24, s[0:1]
	v_mul_f32_e32 v22, v16, v24
	s_waitcnt vmcnt(0)
	v_fma_mix_f32 v22, v34, v13, v22 op_sel_hi:[0,1,0]
	v_cndmask_b32_e64 v22, v22, v24, s[2:3]
	v_fmac_f32_e32 v24, v22, v34
	v_cndmask_b32_e64 v24, v22, v24, s[4:5]
	v_cndmask_b32_e64 v20, v20, -v20, s[18:19]
	v_fma_mixlo_f16 v25, -v32, v24, v11 op_sel_hi:[0,0,1]
	v_fma_mix_f32 v24, v33, v10, v20 op_sel:[0,1,0] op_sel_hi:[0,1,0]
	v_cndmask_b32_e64 v24, v20, v24, s[0:1]
	v_mul_f32_e32 v20, v16, v24
	v_fma_mix_f32 v20, v34, v12, v20 op_sel:[0,1,0] op_sel_hi:[0,1,0]
	v_cndmask_b32_e64 v20, v20, v24, s[2:3]
	v_fmac_f32_e32 v24, v20, v34
	v_cndmask_b32_e64 v19, v19, -v19, s[18:19]
	v_cndmask_b32_e64 v26, v20, v24, s[4:5]
	v_fma_mix_f32 v24, v33, v10, v19 op_sel_hi:[0,1,0]
	v_cndmask_b32_e64 v19, v19, v24, s[0:1]
	v_mul_f32_e32 v24, v16, v19
	v_fma_mix_f32 v12, v34, v12, v24 op_sel_hi:[0,1,0]
	v_cndmask_b32_e64 v12, v12, v19, s[2:3]
	v_fmac_f32_e32 v19, v12, v34
	v_cndmask_b32_e64 v19, v12, v19, s[4:5]
	v_fma_mixlo_f16 v24, -v32, v19, v10 op_sel_hi:[0,0,1]
	v_cndmask_b32_e64 v19, v23, -v23, s[18:19]
	v_fma_mix_f32 v23, v33, v11, v19 op_sel:[0,1,0] op_sel_hi:[0,1,0]
	v_cndmask_b32_e64 v19, v19, v23, s[0:1]
	v_mul_f32_e32 v23, v16, v19
	v_fma_mix_f32 v13, v34, v13, v23 op_sel:[0,1,0] op_sel_hi:[0,1,0]
	v_cndmask_b32_e64 v13, v13, v19, s[2:3]
	v_fmac_f32_e32 v19, v13, v34
	v_cndmask_b32_e64 v19, v13, v19, s[4:5]
	v_fma_mixhi_f16 v25, -v32, v19, v11 op_sel:[0,0,1] op_sel_hi:[0,0,1]
	v_fma_mixhi_f16 v24, -v32, v26, v10 op_sel:[0,0,1] op_sel_hi:[0,0,1]
	s_and_b64 vcc, exec, s[6:7]
	global_store_dwordx2 v[8:9], v[24:25], off
	s_cbranch_vccnz .LBB2_64
; %bb.72:                               ;   in Loop: Header=BB2_65 Depth=1
	v_perm_b32 v9, v15, v21, s15
	v_perm_b32 v8, v14, v18, s15
	global_store_dwordx2 v[6:7], v[8:9], off
	s_branch .LBB2_64
.LBB2_73:                               ;   in Loop: Header=BB2_65 Depth=1
	v_mov_b32_e32 v18, v14
	v_lshrrev_b32_e32 v14, 16, v14
	v_cvt_f32_f16_e32 v20, v14
	s_and_b64 vcc, exec, s[6:7]
	s_cbranch_vccz .LBB2_67
	s_branch .LBB2_68
.LBB2_74:                               ;   in Loop: Header=BB2_65 Depth=1
	v_mov_b32_e32 v21, v15
	v_lshrrev_b32_e32 v15, 16, v15
	v_cvt_f32_f16_e32 v23, v15
	s_and_b64 vcc, exec, s[6:7]
	s_cbranch_vccz .LBB2_70
	s_branch .LBB2_71
.LBB2_75:
	s_endpgm
.LBB2_76:
                                        ; implicit-def: $sgpr8
	s_load_dword s14, s[2:3], 0x740
	v_mov_b32_e32 v32, s8
	s_branch .LBB2_5
	.section	.rodata,"a",@progbits
	.p2align	6, 0x0
	.amdhsa_kernel _ZN2at6native12_GLOBAL__N_125multi_tensor_apply_kernelINS1_18TensorListMetadataILi3EEENS1_19FusedSgdMathFunctorIN3c104HalfELi3EEEJddPfddbbbS9_S9_EEEvT_T0_DpT1_
		.amdhsa_group_segment_fixed_size 0
		.amdhsa_private_segment_fixed_size 0
		.amdhsa_kernarg_size 3472
		.amdhsa_user_sgpr_count 2
		.amdhsa_user_sgpr_dispatch_ptr 0
		.amdhsa_user_sgpr_queue_ptr 0
		.amdhsa_user_sgpr_kernarg_segment_ptr 1
		.amdhsa_user_sgpr_dispatch_id 0
		.amdhsa_user_sgpr_kernarg_preload_length 0
		.amdhsa_user_sgpr_kernarg_preload_offset 0
		.amdhsa_user_sgpr_private_segment_size 0
		.amdhsa_uses_dynamic_stack 0
		.amdhsa_enable_private_segment 0
		.amdhsa_system_sgpr_workgroup_id_x 1
		.amdhsa_system_sgpr_workgroup_id_y 0
		.amdhsa_system_sgpr_workgroup_id_z 0
		.amdhsa_system_sgpr_workgroup_info 0
		.amdhsa_system_vgpr_workitem_id 0
		.amdhsa_next_free_vgpr 57
		.amdhsa_next_free_sgpr 48
		.amdhsa_accum_offset 60
		.amdhsa_reserve_vcc 1
		.amdhsa_float_round_mode_32 0
		.amdhsa_float_round_mode_16_64 0
		.amdhsa_float_denorm_mode_32 3
		.amdhsa_float_denorm_mode_16_64 3
		.amdhsa_dx10_clamp 1
		.amdhsa_ieee_mode 1
		.amdhsa_fp16_overflow 0
		.amdhsa_tg_split 0
		.amdhsa_exception_fp_ieee_invalid_op 0
		.amdhsa_exception_fp_denorm_src 0
		.amdhsa_exception_fp_ieee_div_zero 0
		.amdhsa_exception_fp_ieee_overflow 0
		.amdhsa_exception_fp_ieee_underflow 0
		.amdhsa_exception_fp_ieee_inexact 0
		.amdhsa_exception_int_div_zero 0
	.end_amdhsa_kernel
	.section	.text._ZN2at6native12_GLOBAL__N_125multi_tensor_apply_kernelINS1_18TensorListMetadataILi3EEENS1_19FusedSgdMathFunctorIN3c104HalfELi3EEEJddPfddbbbS9_S9_EEEvT_T0_DpT1_,"axG",@progbits,_ZN2at6native12_GLOBAL__N_125multi_tensor_apply_kernelINS1_18TensorListMetadataILi3EEENS1_19FusedSgdMathFunctorIN3c104HalfELi3EEEJddPfddbbbS9_S9_EEEvT_T0_DpT1_,comdat
.Lfunc_end2:
	.size	_ZN2at6native12_GLOBAL__N_125multi_tensor_apply_kernelINS1_18TensorListMetadataILi3EEENS1_19FusedSgdMathFunctorIN3c104HalfELi3EEEJddPfddbbbS9_S9_EEEvT_T0_DpT1_, .Lfunc_end2-_ZN2at6native12_GLOBAL__N_125multi_tensor_apply_kernelINS1_18TensorListMetadataILi3EEENS1_19FusedSgdMathFunctorIN3c104HalfELi3EEEJddPfddbbbS9_S9_EEEvT_T0_DpT1_
                                        ; -- End function
	.set _ZN2at6native12_GLOBAL__N_125multi_tensor_apply_kernelINS1_18TensorListMetadataILi3EEENS1_19FusedSgdMathFunctorIN3c104HalfELi3EEEJddPfddbbbS9_S9_EEEvT_T0_DpT1_.num_vgpr, 57
	.set _ZN2at6native12_GLOBAL__N_125multi_tensor_apply_kernelINS1_18TensorListMetadataILi3EEENS1_19FusedSgdMathFunctorIN3c104HalfELi3EEEJddPfddbbbS9_S9_EEEvT_T0_DpT1_.num_agpr, 0
	.set _ZN2at6native12_GLOBAL__N_125multi_tensor_apply_kernelINS1_18TensorListMetadataILi3EEENS1_19FusedSgdMathFunctorIN3c104HalfELi3EEEJddPfddbbbS9_S9_EEEvT_T0_DpT1_.numbered_sgpr, 48
	.set _ZN2at6native12_GLOBAL__N_125multi_tensor_apply_kernelINS1_18TensorListMetadataILi3EEENS1_19FusedSgdMathFunctorIN3c104HalfELi3EEEJddPfddbbbS9_S9_EEEvT_T0_DpT1_.num_named_barrier, 0
	.set _ZN2at6native12_GLOBAL__N_125multi_tensor_apply_kernelINS1_18TensorListMetadataILi3EEENS1_19FusedSgdMathFunctorIN3c104HalfELi3EEEJddPfddbbbS9_S9_EEEvT_T0_DpT1_.private_seg_size, 0
	.set _ZN2at6native12_GLOBAL__N_125multi_tensor_apply_kernelINS1_18TensorListMetadataILi3EEENS1_19FusedSgdMathFunctorIN3c104HalfELi3EEEJddPfddbbbS9_S9_EEEvT_T0_DpT1_.uses_vcc, 1
	.set _ZN2at6native12_GLOBAL__N_125multi_tensor_apply_kernelINS1_18TensorListMetadataILi3EEENS1_19FusedSgdMathFunctorIN3c104HalfELi3EEEJddPfddbbbS9_S9_EEEvT_T0_DpT1_.uses_flat_scratch, 0
	.set _ZN2at6native12_GLOBAL__N_125multi_tensor_apply_kernelINS1_18TensorListMetadataILi3EEENS1_19FusedSgdMathFunctorIN3c104HalfELi3EEEJddPfddbbbS9_S9_EEEvT_T0_DpT1_.has_dyn_sized_stack, 0
	.set _ZN2at6native12_GLOBAL__N_125multi_tensor_apply_kernelINS1_18TensorListMetadataILi3EEENS1_19FusedSgdMathFunctorIN3c104HalfELi3EEEJddPfddbbbS9_S9_EEEvT_T0_DpT1_.has_recursion, 0
	.set _ZN2at6native12_GLOBAL__N_125multi_tensor_apply_kernelINS1_18TensorListMetadataILi3EEENS1_19FusedSgdMathFunctorIN3c104HalfELi3EEEJddPfddbbbS9_S9_EEEvT_T0_DpT1_.has_indirect_call, 0
	.section	.AMDGPU.csdata,"",@progbits
; Kernel info:
; codeLenInByte = 3392
; TotalNumSgprs: 54
; NumVgprs: 57
; NumAgprs: 0
; TotalNumVgprs: 57
; ScratchSize: 0
; MemoryBound: 0
; FloatMode: 240
; IeeeMode: 1
; LDSByteSize: 0 bytes/workgroup (compile time only)
; SGPRBlocks: 6
; VGPRBlocks: 7
; NumSGPRsForWavesPerEU: 54
; NumVGPRsForWavesPerEU: 57
; AccumOffset: 60
; Occupancy: 8
; WaveLimiterHint : 0
; COMPUTE_PGM_RSRC2:SCRATCH_EN: 0
; COMPUTE_PGM_RSRC2:USER_SGPR: 2
; COMPUTE_PGM_RSRC2:TRAP_HANDLER: 0
; COMPUTE_PGM_RSRC2:TGID_X_EN: 1
; COMPUTE_PGM_RSRC2:TGID_Y_EN: 0
; COMPUTE_PGM_RSRC2:TGID_Z_EN: 0
; COMPUTE_PGM_RSRC2:TIDIG_COMP_CNT: 0
; COMPUTE_PGM_RSRC3_GFX90A:ACCUM_OFFSET: 14
; COMPUTE_PGM_RSRC3_GFX90A:TG_SPLIT: 0
	.section	.text._ZN2at6native12_GLOBAL__N_125multi_tensor_apply_kernelINS1_18TensorListMetadataILi3EEENS1_19FusedSgdMathFunctorIN3c108BFloat16ELi3EEEJddPfddbbbS9_S9_EEEvT_T0_DpT1_,"axG",@progbits,_ZN2at6native12_GLOBAL__N_125multi_tensor_apply_kernelINS1_18TensorListMetadataILi3EEENS1_19FusedSgdMathFunctorIN3c108BFloat16ELi3EEEJddPfddbbbS9_S9_EEEvT_T0_DpT1_,comdat
	.globl	_ZN2at6native12_GLOBAL__N_125multi_tensor_apply_kernelINS1_18TensorListMetadataILi3EEENS1_19FusedSgdMathFunctorIN3c108BFloat16ELi3EEEJddPfddbbbS9_S9_EEEvT_T0_DpT1_ ; -- Begin function _ZN2at6native12_GLOBAL__N_125multi_tensor_apply_kernelINS1_18TensorListMetadataILi3EEENS1_19FusedSgdMathFunctorIN3c108BFloat16ELi3EEEJddPfddbbbS9_S9_EEEvT_T0_DpT1_
	.p2align	8
	.type	_ZN2at6native12_GLOBAL__N_125multi_tensor_apply_kernelINS1_18TensorListMetadataILi3EEENS1_19FusedSgdMathFunctorIN3c108BFloat16ELi3EEEJddPfddbbbS9_S9_EEEvT_T0_DpT1_,@function
_ZN2at6native12_GLOBAL__N_125multi_tensor_apply_kernelINS1_18TensorListMetadataILi3EEENS1_19FusedSgdMathFunctorIN3c108BFloat16ELi3EEEJddPfddbbbS9_S9_EEEvT_T0_DpT1_: ; @_ZN2at6native12_GLOBAL__N_125multi_tensor_apply_kernelINS1_18TensorListMetadataILi3EEENS1_19FusedSgdMathFunctorIN3c108BFloat16ELi3EEEJddPfddbbbS9_S9_EEEvT_T0_DpT1_
; %bb.0:
	s_load_dwordx4 s[20:23], s[0:1], 0xc80
	s_waitcnt lgkmcnt(0)
	s_cmp_eq_u64 s[22:23], 0
	s_cselect_b64 s[4:5], -1, 0
	s_and_b64 vcc, exec, s[4:5]
	s_cbranch_vccnz .LBB3_2
; %bb.1:
	s_load_dword s3, s[22:23], 0x0
	s_waitcnt lgkmcnt(0)
	v_cmp_neq_f32_e64 s[4:5], s3, 1.0
.LBB3_2:
	s_andn2_b64 vcc, exec, s[4:5]
	s_cbranch_vccnz .LBB3_75
; %bb.3:
	v_mov_b32_e32 v1, s2
	global_load_ubyte v1, v1, s[0:1] offset:1536
	s_load_dwordx2 s[12:13], s[0:1], 0xc70
	s_load_dwordx8 s[4:11], s[0:1], 0xc50
	s_add_u32 s3, s0, s2
	s_mul_hi_u32 s14, s2, 3
	s_mul_i32 s2, s2, 3
	s_addc_u32 s15, s1, 0
	s_add_u32 s2, s3, s2
	s_addc_u32 s3, s15, s14
	s_waitcnt lgkmcnt(0)
	s_cmp_eq_u64 s[8:9], 0
	s_mov_b64 s[16:17], 0
	s_waitcnt vmcnt(0)
	v_readfirstlane_b32 s15, v1
	s_cbranch_scc1 .LBB3_76
; %bb.4:
	s_load_dword s8, s[8:9], 0x0
	s_nop 0
	s_load_dword s14, s[2:3], 0x740
	s_andn2_b64 vcc, exec, s[16:17]
	s_waitcnt lgkmcnt(0)
	v_mov_b32_e32 v44, s8
	s_cbranch_vccnz .LBB3_6
.LBB3_5:
	v_cvt_f32_f64_e32 v44, s[10:11]
.LBB3_6:
	s_load_dword s2, s[0:1], 0xc78
	v_cvt_f32_f64_e32 v45, s[4:5]
	v_cvt_f32_f64_e32 v2, s[6:7]
	;; [unrolled: 1-line block ×3, first 2 shown]
	s_waitcnt lgkmcnt(0)
	s_bitcmp1_b32 s2, 0
	s_cselect_b64 s[4:5], -1, 0
	s_bitcmp1_b32 s2, 8
	s_cselect_b64 s[18:19], -1, 0
	;; [unrolled: 2-line block ×3, first 2 shown]
	s_and_b32 s6, s15, 0xff
	s_lshl_b32 s22, s6, 3
	s_load_dwordx2 s[6:7], s[0:1], s22 offset:0x480
	s_ashr_i32 s15, s14, 31
	s_lshl_b64 s[16:17], s[14:15], 16
	s_load_dwordx2 s[8:9], s[0:1], s22 offset:0x0
	s_load_dwordx2 s[10:11], s[0:1], s22 offset:0x180
	;; [unrolled: 1-line block ×3, first 2 shown]
	s_waitcnt lgkmcnt(0)
	s_sub_u32 s22, s6, s16
	s_subb_u32 s23, s7, s17
	s_lshl_b64 s[30:31], s[14:15], 17
	s_add_u32 s24, s8, s30
	s_addc_u32 s25, s9, s31
	s_and_b32 s14, s24, 7
	s_add_u32 s26, s10, s30
	s_addc_u32 s27, s11, s31
	s_and_b32 s16, s26, 7
	s_mov_b32 s15, 0
	s_add_u32 s28, s12, s30
	s_addc_u32 s29, s13, s31
	s_and_b32 s34, s28, 7
	s_mov_b32 s35, s15
	s_and_b32 s6, s6, 3
	s_mov_b32 s7, s15
	s_mov_b32 s17, s15
	s_or_b64 s[6:7], s[6:7], s[34:35]
	s_or_b64 s[6:7], s[6:7], s[16:17]
	;; [unrolled: 1-line block ×3, first 2 shown]
	s_cmp_eq_u64 s[6:7], 0
	s_mov_b64 s[6:7], -1
	s_cbranch_scc1 .LBB3_61
; %bb.7:
	v_cmp_lt_i64_e64 s[6:7], s[22:23], 1
	s_and_b64 vcc, exec, s[6:7]
	s_cbranch_vccnz .LBB3_60
; %bb.8:
	v_mov_b64_e32 v[4:5], 0x10000
	v_cmp_lt_i64_e32 vcc, s[22:23], v[4:5]
	s_and_b64 s[6:7], vcc, exec
	s_load_dword s6, s[0:1], 0xc9c
	s_cselect_b32 s37, s23, 0
	s_cselect_b32 s36, s22, 0x10000
	s_mov_b32 s35, 0
	v_mov_b32_e32 v4, 0
	s_waitcnt lgkmcnt(0)
	s_and_b32 s14, s6, 0xffff
	s_lshl_b32 s16, s14, 1
	v_mov_b32_e32 v1, v4
	s_mov_b32 s15, s35
	s_cmp_lg_u64 s[20:21], 0
	s_cselect_b64 s[40:41], -1, 0
	s_lshl_b32 s34, s14, 2
	v_lshlrev_b32_e32 v20, 1, v0
	v_mov_b32_e32 v21, v4
	v_lshl_add_u64 v[28:29], v[0:1], 0, s[14:15]
	s_mov_b32 s17, s35
	s_mul_i32 s44, s14, 3
	s_mov_b32 s45, s35
	v_mad_u64_u32 v[16:17], s[46:47], s14, 6, v[20:21]
	v_lshl_add_u64 v[24:25], s[34:35], 0, v[20:21]
	v_lshlrev_b32_e32 v34, 1, v28
	v_mov_b32_e32 v35, v4
	s_mov_b64 s[38:39], 0
	v_cmp_neq_f32_e64 s[6:7], 0, v45
	v_sub_f32_e32 v3, 1.0, v46
	v_lshl_add_u64 v[6:7], s[8:9], 0, v[20:21]
	s_lshl_b32 s42, s14, 3
	s_mov_b32 s43, s35
	v_lshl_add_u64 v[8:9], s[10:11], 0, v[20:21]
	v_lshl_add_u64 v[10:11], s[12:13], 0, v[20:21]
	;; [unrolled: 1-line block ×13, first 2 shown]
	s_movk_i32 s33, 0x7fff
	v_mov_b32_e32 v47, 0x7fc0
	v_mov_b32_e32 v48, 0x7fc00000
	s_branch .LBB3_10
.LBB3_9:                                ;   in Loop: Header=BB3_10 Depth=1
	s_or_b64 exec, exec, s[8:9]
	s_add_u32 s38, s38, s34
	s_addc_u32 s39, s39, 0
	v_mov_b64_e32 v[36:37], s[36:37]
	v_cmp_lt_i64_e32 vcc, s[38:39], v[36:37]
	v_lshl_add_u64 v[6:7], v[6:7], 0, s[42:43]
	v_lshl_add_u64 v[8:9], v[8:9], 0, s[42:43]
	;; [unrolled: 1-line block ×12, first 2 shown]
	s_cbranch_vccz .LBB3_60
.LBB3_10:                               ; =>This Inner Loop Header: Depth=1
	v_lshl_add_u64 v[36:37], v[0:1], 0, s[38:39]
	v_cmp_gt_i64_e64 s[8:9], s[36:37], v[36:37]
	v_mov_b64_e32 v[38:39], 0
	v_mov_b64_e32 v[36:37], 0
	;; [unrolled: 1-line block ×3, first 2 shown]
	s_and_saveexec_b64 s[10:11], s[8:9]
	s_cbranch_execz .LBB3_12
; %bb.11:                               ;   in Loop: Header=BB3_10 Depth=1
	v_lshl_add_u64 v[40:41], v[6:7], 0, s[30:31]
	v_lshl_add_u64 v[36:37], v[8:9], 0, s[30:31]
	global_load_ushort v5, v[40:41], off
	global_load_ushort v42, v[36:37], off
	v_mov_b32_e32 v41, s35
	v_mov_b32_e32 v37, s35
	s_waitcnt vmcnt(1)
	v_and_b32_e32 v40, 0xffff, v5
	s_waitcnt vmcnt(0)
	v_and_b32_e32 v36, 0xffff, v42
.LBB3_12:                               ;   in Loop: Header=BB3_10 Depth=1
	s_or_b64 exec, exec, s[10:11]
	s_and_saveexec_b64 s[10:11], s[8:9]
	s_cbranch_execz .LBB3_14
; %bb.13:                               ;   in Loop: Header=BB3_10 Depth=1
	v_lshl_add_u64 v[38:39], v[10:11], 0, s[30:31]
	global_load_ushort v5, v[38:39], off
	v_mov_b32_e32 v39, s35
	s_waitcnt vmcnt(0)
	v_and_b32_e32 v38, 0xffff, v5
.LBB3_14:                               ;   in Loop: Header=BB3_10 Depth=1
	s_or_b64 exec, exec, s[10:11]
	v_lshl_add_u64 v[42:43], v[28:29], 0, s[38:39]
	v_cmp_gt_i64_e64 s[10:11], s[36:37], v[42:43]
	s_and_saveexec_b64 s[12:13], s[10:11]
	s_cbranch_execz .LBB3_16
; %bb.15:                               ;   in Loop: Header=BB3_10 Depth=1
	v_lshl_add_u64 v[42:43], v[30:31], 0, s[30:31]
	global_load_ushort v5, v[42:43], off
	v_lshl_add_u64 v[42:43], v[32:33], 0, s[30:31]
	global_load_ushort v42, v[42:43], off
	s_waitcnt vmcnt(1)
	v_lshl_or_b32 v40, v5, 16, v40
	s_waitcnt vmcnt(0)
	v_lshl_or_b32 v36, v42, 16, v36
.LBB3_16:                               ;   in Loop: Header=BB3_10 Depth=1
	s_or_b64 exec, exec, s[12:13]
	s_and_saveexec_b64 s[12:13], s[10:11]
	s_cbranch_execz .LBB3_18
; %bb.17:                               ;   in Loop: Header=BB3_10 Depth=1
	v_lshl_add_u64 v[42:43], v[34:35], 0, s[30:31]
	global_load_ushort v5, v[42:43], off
	s_waitcnt vmcnt(0)
	v_lshl_or_b32 v38, v5, 16, v38
.LBB3_18:                               ;   in Loop: Header=BB3_10 Depth=1
	s_or_b64 exec, exec, s[12:13]
	v_lshl_add_u64 v[42:43], v[26:27], 0, s[38:39]
	v_cmp_gt_i64_e64 s[12:13], s[36:37], v[42:43]
	v_cmp_le_i64_e32 vcc, s[36:37], v[42:43]
	s_and_saveexec_b64 s[14:15], vcc
	s_xor_b64 s[14:15], exec, s[14:15]
	s_andn2_saveexec_b64 s[14:15], s[14:15]
	s_cbranch_execz .LBB3_20
; %bb.19:                               ;   in Loop: Header=BB3_10 Depth=1
	v_lshl_add_u64 v[42:43], v[20:21], 0, s[30:31]
	global_load_ushort v5, v[42:43], off
	v_lshl_add_u64 v[42:43], v[22:23], 0, s[30:31]
	global_load_ushort v42, v[42:43], off
	s_waitcnt vmcnt(1)
	v_or_b32_e32 v41, v5, v41
	s_waitcnt vmcnt(0)
	v_or_b32_e32 v37, v42, v37
.LBB3_20:                               ;   in Loop: Header=BB3_10 Depth=1
	s_or_b64 exec, exec, s[14:15]
	s_and_saveexec_b64 s[14:15], s[12:13]
	s_cbranch_execz .LBB3_22
; %bb.21:                               ;   in Loop: Header=BB3_10 Depth=1
	v_lshl_add_u64 v[42:43], v[24:25], 0, s[30:31]
	global_load_ushort v5, v[42:43], off
	s_waitcnt vmcnt(0)
	v_or_b32_e32 v39, v5, v39
.LBB3_22:                               ;   in Loop: Header=BB3_10 Depth=1
	s_or_b64 exec, exec, s[14:15]
	v_lshl_add_u64 v[42:43], v[18:19], 0, s[38:39]
	v_cmp_gt_i64_e64 s[14:15], s[36:37], v[42:43]
	s_and_saveexec_b64 s[16:17], s[14:15]
	s_cbranch_execz .LBB3_24
; %bb.23:                               ;   in Loop: Header=BB3_10 Depth=1
	v_lshl_add_u64 v[42:43], v[12:13], 0, s[30:31]
	global_load_ushort v5, v[42:43], off
	v_lshl_add_u64 v[42:43], v[14:15], 0, s[30:31]
	global_load_ushort v42, v[42:43], off
	s_waitcnt vmcnt(1)
	v_lshlrev_b32_e32 v43, 16, v5
	v_or_b32_e32 v41, v43, v41
	s_waitcnt vmcnt(0)
	v_lshlrev_b32_e32 v5, 16, v42
	v_lshl_add_u64 v[36:37], v[4:5], 0, v[36:37]
.LBB3_24:                               ;   in Loop: Header=BB3_10 Depth=1
	s_or_b64 exec, exec, s[16:17]
	s_and_saveexec_b64 s[16:17], s[14:15]
	s_cbranch_execz .LBB3_26
; %bb.25:                               ;   in Loop: Header=BB3_10 Depth=1
	v_lshl_add_u64 v[42:43], v[16:17], 0, s[30:31]
	global_load_ushort v5, v[42:43], off
	s_waitcnt vmcnt(0)
	v_lshlrev_b32_e32 v5, 16, v5
	v_or_b32_e32 v39, v5, v39
.LBB3_26:                               ;   in Loop: Header=BB3_10 Depth=1
	s_or_b64 exec, exec, s[16:17]
	v_cndmask_b32_e64 v5, 0, 1, s[40:41]
	v_cmp_ne_u32_e64 s[16:17], 1, v5
	s_andn2_b64 vcc, exec, s[40:41]
	v_lshlrev_b32_e32 v5, 16, v36
	s_cbranch_vccnz .LBB3_28
; %bb.27:                               ;   in Loop: Header=BB3_10 Depth=1
	s_load_dword s46, s[20:21], 0x0
	v_and_b32_e32 v36, 0xffff0000, v36
	s_waitcnt lgkmcnt(0)
	v_div_scale_f32 v42, s[44:45], s46, s46, v5
	v_rcp_f32_e32 v43, v42
	v_div_scale_f32 v49, vcc, v5, s46, v5
	v_fma_f32 v50, -v42, v43, 1.0
	v_fmac_f32_e32 v43, v50, v43
	v_mul_f32_e32 v50, v49, v43
	v_fma_f32 v51, -v42, v50, v49
	v_fmac_f32_e32 v50, v51, v43
	v_fma_f32 v42, -v42, v50, v49
	v_div_fmas_f32 v42, v42, v43, v50
	v_div_fixup_f32 v5, v42, s46, v5
	v_bfe_u32 v42, v5, 16, 1
	v_cmp_o_f32_e32 vcc, v5, v5
	v_add3_u32 v42, v5, v42, s33
	s_nop 0
	v_cndmask_b32_sdwa v42, v47, v42, vcc dst_sel:DWORD dst_unused:UNUSED_PAD src0_sel:DWORD src1_sel:WORD_1
	v_or_b32_e32 v36, v42, v36
.LBB3_28:                               ;   in Loop: Header=BB3_10 Depth=1
	s_and_b64 vcc, exec, s[16:17]
	v_and_b32_e32 v49, 0xffff0000, v36
	s_cbranch_vccnz .LBB3_30
; %bb.29:                               ;   in Loop: Header=BB3_10 Depth=1
	s_load_dword s46, s[20:21], 0x0
	s_waitcnt lgkmcnt(0)
	v_div_scale_f32 v42, s[44:45], s46, s46, v49
	v_rcp_f32_e32 v43, v42
	v_div_scale_f32 v50, vcc, v49, s46, v49
	v_fma_f32 v51, -v42, v43, 1.0
	v_fmac_f32_e32 v43, v51, v43
	v_mul_f32_e32 v51, v50, v43
	v_fma_f32 v52, -v42, v51, v50
	v_fmac_f32_e32 v51, v52, v43
	v_fma_f32 v42, -v42, v51, v50
	v_div_fmas_f32 v42, v42, v43, v51
	v_div_fixup_f32 v49, v42, s46, v49
	v_bfe_u32 v42, v49, 16, 1
	v_add3_u32 v42, v49, v42, s33
	v_and_b32_e32 v42, 0xffff0000, v42
	v_cmp_o_f32_e32 vcc, v49, v49
	s_nop 1
	v_cndmask_b32_e32 v42, v48, v42, vcc
	v_or_b32_sdwa v36, v42, v36 dst_sel:DWORD dst_unused:UNUSED_PAD src0_sel:DWORD src1_sel:WORD_0
.LBB3_30:                               ;   in Loop: Header=BB3_10 Depth=1
	v_alignbit_b32 v42, v37, v36, 16
	s_and_b64 vcc, exec, s[16:17]
	v_and_b32_e32 v50, 0xffff0000, v42
	s_cbranch_vccnz .LBB3_32
; %bb.31:                               ;   in Loop: Header=BB3_10 Depth=1
	s_load_dword s46, s[20:21], 0x0
	v_and_b32_e32 v37, 0xffff0000, v37
	s_waitcnt lgkmcnt(0)
	v_div_scale_f32 v42, s[44:45], s46, s46, v50
	v_rcp_f32_e32 v43, v42
	v_div_scale_f32 v51, vcc, v50, s46, v50
	v_fma_f32 v52, -v42, v43, 1.0
	v_fmac_f32_e32 v43, v52, v43
	v_mul_f32_e32 v52, v51, v43
	v_fma_f32 v53, -v42, v52, v51
	v_fmac_f32_e32 v52, v53, v43
	v_fma_f32 v42, -v42, v52, v51
	v_div_fmas_f32 v42, v42, v43, v52
	v_div_fixup_f32 v50, v42, s46, v50
	v_bfe_u32 v42, v50, 16, 1
	v_cmp_o_f32_e32 vcc, v50, v50
	v_add3_u32 v42, v50, v42, s33
	s_nop 0
	v_cndmask_b32_sdwa v42, v47, v42, vcc dst_sel:DWORD dst_unused:UNUSED_PAD src0_sel:DWORD src1_sel:WORD_1
	v_or_b32_e32 v37, v42, v37
.LBB3_32:                               ;   in Loop: Header=BB3_10 Depth=1
	s_and_b64 vcc, exec, s[16:17]
	v_and_b32_e32 v51, 0xffff0000, v37
	s_cbranch_vccnz .LBB3_34
; %bb.33:                               ;   in Loop: Header=BB3_10 Depth=1
	s_load_dword s46, s[20:21], 0x0
	s_waitcnt lgkmcnt(0)
	v_div_scale_f32 v42, s[44:45], s46, s46, v51
	v_rcp_f32_e32 v43, v42
	v_div_scale_f32 v52, vcc, v51, s46, v51
	v_fma_f32 v53, -v42, v43, 1.0
	v_fmac_f32_e32 v43, v53, v43
	v_mul_f32_e32 v53, v52, v43
	v_fma_f32 v54, -v42, v53, v52
	v_fmac_f32_e32 v53, v54, v43
	v_fma_f32 v42, -v42, v53, v52
	v_div_fmas_f32 v42, v42, v43, v53
	v_div_fixup_f32 v51, v42, s46, v51
	v_bfe_u32 v42, v51, 16, 1
	v_add3_u32 v42, v51, v42, s33
	v_and_b32_e32 v42, 0xffff0000, v42
	v_cmp_o_f32_e32 vcc, v51, v51
	s_nop 1
	v_cndmask_b32_e32 v42, v48, v42, vcc
	v_or_b32_sdwa v37, v42, v37 dst_sel:DWORD dst_unused:UNUSED_PAD src0_sel:DWORD src1_sel:WORD_0
.LBB3_34:                               ;   in Loop: Header=BB3_10 Depth=1
	v_lshlrev_b32_e32 v52, 16, v40
	v_cndmask_b32_e64 v5, v5, -v5, s[18:19]
	v_fma_f32 v42, v45, v52, v5
	v_cndmask_b32_e64 v43, v5, v42, s[6:7]
	v_lshlrev_b32_e32 v42, 16, v38
	v_pk_mul_f32 v[54:55], v[2:3], v[42:43]
	s_nop 0
	v_add_f32_e32 v5, v54, v55
	v_cndmask_b32_e64 v5, v5, v43, s[2:3]
	s_and_saveexec_b64 s[44:45], s[8:9]
	s_cbranch_execz .LBB3_36
; %bb.35:                               ;   in Loop: Header=BB3_10 Depth=1
	v_fmac_f32_e32 v43, v5, v2
	v_cndmask_b32_e64 v42, v5, v43, s[4:5]
	v_fma_f32 v42, -v44, v42, v52
	v_bfe_u32 v43, v42, 16, 1
	v_add3_u32 v43, v42, v43, s33
	v_cmp_o_f32_e32 vcc, v42, v42
	s_nop 1
	v_cndmask_b32_sdwa v52, v47, v43, vcc dst_sel:DWORD dst_unused:UNUSED_PAD src0_sel:DWORD src1_sel:WORD_1
	v_lshl_add_u64 v[42:43], v[6:7], 0, s[30:31]
	global_store_short v[42:43], v52, off
.LBB3_36:                               ;   in Loop: Header=BB3_10 Depth=1
	s_or_b64 exec, exec, s[44:45]
	v_and_b32_e32 v52, 0xffff0000, v40
	v_cndmask_b32_e64 v42, v49, -v49, s[18:19]
	v_fma_f32 v43, v45, v52, v42
	v_cndmask_b32_e64 v43, v42, v43, s[6:7]
	v_and_b32_e32 v42, 0xffff0000, v38
	v_pk_mul_f32 v[54:55], v[2:3], v[42:43]
	s_nop 0
	v_add_f32_e32 v42, v54, v55
	v_cndmask_b32_e64 v49, v42, v43, s[2:3]
	s_and_saveexec_b64 s[44:45], s[10:11]
	s_cbranch_execz .LBB3_38
; %bb.37:                               ;   in Loop: Header=BB3_10 Depth=1
	v_fmac_f32_e32 v43, v49, v2
	v_cndmask_b32_e64 v42, v49, v43, s[4:5]
	v_fma_f32 v42, -v44, v42, v52
	v_bfe_u32 v43, v42, 16, 1
	v_add3_u32 v43, v42, v43, s33
	v_cmp_o_f32_e32 vcc, v42, v42
	s_nop 1
	v_cndmask_b32_sdwa v52, v47, v43, vcc dst_sel:DWORD dst_unused:UNUSED_PAD src0_sel:DWORD src1_sel:WORD_1
	v_lshl_add_u64 v[42:43], v[30:31], 0, s[30:31]
	global_store_short v[42:43], v52, off
.LBB3_38:                               ;   in Loop: Header=BB3_10 Depth=1
	s_or_b64 exec, exec, s[44:45]
	v_alignbit_b32 v40, v41, v40, 16
	v_and_b32_e32 v40, 0xffff0000, v40
	v_cndmask_b32_e64 v42, v50, -v50, s[18:19]
	v_fma_f32 v43, v45, v40, v42
	v_alignbit_b32 v38, v39, v38, 16
	v_cndmask_b32_e64 v43, v42, v43, s[6:7]
	v_and_b32_e32 v42, 0xffff0000, v38
	v_pk_mul_f32 v[52:53], v[2:3], v[42:43]
	s_nop 0
	v_add_f32_e32 v38, v52, v53
	v_cndmask_b32_e64 v38, v38, v43, s[2:3]
	s_and_saveexec_b64 s[44:45], s[12:13]
	s_cbranch_execz .LBB3_40
; %bb.39:                               ;   in Loop: Header=BB3_10 Depth=1
	v_fmac_f32_e32 v43, v38, v2
	v_cndmask_b32_e64 v42, v38, v43, s[4:5]
	v_fma_f32 v40, -v44, v42, v40
	v_bfe_u32 v42, v40, 16, 1
	v_add3_u32 v42, v40, v42, s33
	v_cmp_o_f32_e32 vcc, v40, v40
	s_nop 1
	v_cndmask_b32_sdwa v40, v47, v42, vcc dst_sel:DWORD dst_unused:UNUSED_PAD src0_sel:DWORD src1_sel:WORD_1
	v_lshl_add_u64 v[42:43], v[20:21], 0, s[30:31]
	global_store_short v[42:43], v40, off
.LBB3_40:                               ;   in Loop: Header=BB3_10 Depth=1
	s_or_b64 exec, exec, s[44:45]
	v_and_b32_e32 v42, 0xffff0000, v41
	v_cndmask_b32_e64 v40, v51, -v51, s[18:19]
	v_fma_f32 v41, v45, v42, v40
	v_cndmask_b32_e64 v41, v40, v41, s[6:7]
	v_and_b32_e32 v40, 0xffff0000, v39
	v_pk_mul_f32 v[50:51], v[2:3], v[40:41]
	s_nop 0
	v_add_f32_e32 v39, v50, v51
	v_cndmask_b32_e64 v39, v39, v41, s[2:3]
	s_and_saveexec_b64 s[44:45], s[14:15]
	s_cbranch_execz .LBB3_42
; %bb.41:                               ;   in Loop: Header=BB3_10 Depth=1
	v_fmac_f32_e32 v41, v39, v2
	v_cndmask_b32_e64 v40, v39, v41, s[4:5]
	v_fma_f32 v40, -v44, v40, v42
	v_bfe_u32 v41, v40, 16, 1
	v_add3_u32 v41, v40, v41, s33
	v_cmp_o_f32_e32 vcc, v40, v40
	s_nop 1
	v_cndmask_b32_sdwa v42, v47, v41, vcc dst_sel:DWORD dst_unused:UNUSED_PAD src0_sel:DWORD src1_sel:WORD_1
	v_lshl_add_u64 v[40:41], v[12:13], 0, s[30:31]
	global_store_short v[40:41], v42, off
.LBB3_42:                               ;   in Loop: Header=BB3_10 Depth=1
	s_or_b64 exec, exec, s[44:45]
	s_and_b64 vcc, exec, s[16:17]
	s_cbranch_vccnz .LBB3_49
; %bb.43:                               ;   in Loop: Header=BB3_10 Depth=1
	s_and_saveexec_b64 s[16:17], s[8:9]
	s_cbranch_execnz .LBB3_57
; %bb.44:                               ;   in Loop: Header=BB3_10 Depth=1
	s_or_b64 exec, exec, s[16:17]
	s_and_saveexec_b64 s[16:17], s[10:11]
	s_cbranch_execnz .LBB3_58
.LBB3_45:                               ;   in Loop: Header=BB3_10 Depth=1
	s_or_b64 exec, exec, s[16:17]
	s_and_saveexec_b64 s[16:17], s[12:13]
	s_cbranch_execnz .LBB3_59
.LBB3_46:                               ;   in Loop: Header=BB3_10 Depth=1
	s_or_b64 exec, exec, s[16:17]
	s_and_saveexec_b64 s[16:17], s[14:15]
	s_cbranch_execz .LBB3_48
.LBB3_47:                               ;   in Loop: Header=BB3_10 Depth=1
	v_lshl_add_u64 v[40:41], v[14:15], 0, s[30:31]
	global_store_short_d16_hi v[40:41], v37, off
.LBB3_48:                               ;   in Loop: Header=BB3_10 Depth=1
	s_or_b64 exec, exec, s[16:17]
.LBB3_49:                               ;   in Loop: Header=BB3_10 Depth=1
	s_and_saveexec_b64 s[16:17], s[8:9]
	s_cbranch_execnz .LBB3_53
; %bb.50:                               ;   in Loop: Header=BB3_10 Depth=1
	s_or_b64 exec, exec, s[16:17]
	s_and_saveexec_b64 s[8:9], s[10:11]
	s_cbranch_execnz .LBB3_54
.LBB3_51:                               ;   in Loop: Header=BB3_10 Depth=1
	s_or_b64 exec, exec, s[8:9]
	s_and_saveexec_b64 s[8:9], s[12:13]
	s_cbranch_execnz .LBB3_55
.LBB3_52:                               ;   in Loop: Header=BB3_10 Depth=1
	s_or_b64 exec, exec, s[8:9]
	s_and_saveexec_b64 s[8:9], s[14:15]
	s_cbranch_execz .LBB3_9
	s_branch .LBB3_56
.LBB3_53:                               ;   in Loop: Header=BB3_10 Depth=1
	v_bfe_u32 v36, v5, 16, 1
	v_add3_u32 v36, v5, v36, s33
	v_cmp_o_f32_e32 vcc, v5, v5
	s_nop 1
	v_cndmask_b32_sdwa v5, v47, v36, vcc dst_sel:DWORD dst_unused:UNUSED_PAD src0_sel:DWORD src1_sel:WORD_1
	v_lshl_add_u64 v[36:37], v[10:11], 0, s[30:31]
	global_store_short v[36:37], v5, off
	s_or_b64 exec, exec, s[16:17]
	s_and_saveexec_b64 s[8:9], s[10:11]
	s_cbranch_execz .LBB3_51
.LBB3_54:                               ;   in Loop: Header=BB3_10 Depth=1
	v_bfe_u32 v5, v49, 16, 1
	v_add3_u32 v5, v49, v5, s33
	v_cmp_o_f32_e32 vcc, v49, v49
	v_lshl_add_u64 v[36:37], v[34:35], 0, s[30:31]
	s_nop 0
	v_cndmask_b32_sdwa v5, v47, v5, vcc dst_sel:DWORD dst_unused:UNUSED_PAD src0_sel:DWORD src1_sel:WORD_1
	global_store_short v[36:37], v5, off
	s_or_b64 exec, exec, s[8:9]
	s_and_saveexec_b64 s[8:9], s[12:13]
	s_cbranch_execz .LBB3_52
.LBB3_55:                               ;   in Loop: Header=BB3_10 Depth=1
	v_bfe_u32 v5, v38, 16, 1
	v_add3_u32 v5, v38, v5, s33
	v_cmp_o_f32_e32 vcc, v38, v38
	v_lshl_add_u64 v[36:37], v[24:25], 0, s[30:31]
	s_nop 0
	v_cndmask_b32_sdwa v5, v47, v5, vcc dst_sel:DWORD dst_unused:UNUSED_PAD src0_sel:DWORD src1_sel:WORD_1
	global_store_short v[36:37], v5, off
	s_or_b64 exec, exec, s[8:9]
	s_and_saveexec_b64 s[8:9], s[14:15]
	s_cbranch_execz .LBB3_9
.LBB3_56:                               ;   in Loop: Header=BB3_10 Depth=1
	v_bfe_u32 v5, v39, 16, 1
	v_add3_u32 v5, v39, v5, s33
	v_cmp_o_f32_e32 vcc, v39, v39
	v_lshl_add_u64 v[36:37], v[16:17], 0, s[30:31]
	s_nop 0
	v_cndmask_b32_sdwa v5, v47, v5, vcc dst_sel:DWORD dst_unused:UNUSED_PAD src0_sel:DWORD src1_sel:WORD_1
	global_store_short v[36:37], v5, off
	s_branch .LBB3_9
.LBB3_57:                               ;   in Loop: Header=BB3_10 Depth=1
	v_lshl_add_u64 v[40:41], v[8:9], 0, s[30:31]
	global_store_short v[40:41], v36, off
	s_or_b64 exec, exec, s[16:17]
	s_and_saveexec_b64 s[16:17], s[10:11]
	s_cbranch_execz .LBB3_45
.LBB3_58:                               ;   in Loop: Header=BB3_10 Depth=1
	v_lshl_add_u64 v[40:41], v[32:33], 0, s[30:31]
	global_store_short_d16_hi v[40:41], v36, off
	s_or_b64 exec, exec, s[16:17]
	s_and_saveexec_b64 s[16:17], s[12:13]
	s_cbranch_execz .LBB3_46
.LBB3_59:                               ;   in Loop: Header=BB3_10 Depth=1
	v_lshl_add_u64 v[40:41], v[22:23], 0, s[30:31]
	global_store_short v[40:41], v37, off
	s_or_b64 exec, exec, s[16:17]
	s_and_saveexec_b64 s[16:17], s[14:15]
	s_cbranch_execnz .LBB3_47
	s_branch .LBB3_48
.LBB3_60:
	s_mov_b64 s[6:7], 0
.LBB3_61:
	s_andn2_b64 vcc, exec, s[6:7]
	s_cbranch_vccnz .LBB3_75
; %bb.62:
	v_mov_b32_e32 v5, 0
	v_lshlrev_b32_e32 v4, 2, v0
	v_cmp_gt_i64_e32 vcc, s[22:23], v[4:5]
	s_and_saveexec_b64 s[6:7], vcc
	s_cbranch_execz .LBB3_75
; %bb.63:
	s_load_dword s8, s[0:1], 0xc9c
	s_cmp_lg_u64 s[20:21], 0
	s_cselect_b64 s[6:7], -1, 0
	v_cndmask_b32_e64 v6, 0, 1, s[6:7]
	v_mov_b32_e32 v1, v5
	s_waitcnt lgkmcnt(0)
	s_and_b32 s14, s8, 0xffff
	v_add_lshl_u32 v4, v0, s14, 2
	s_mov_b64 s[10:11], 0
	s_mov_b32 s13, 0
	v_cmp_neq_f32_e64 s[0:1], 0, v45
	v_sub_f32_e32 v3, 1.0, v46
	v_add_u32_e32 v18, s14, v0
	s_lshl_b32 s12, s14, 2
	v_cmp_ne_u32_e64 s[6:7], 1, v6
	s_movk_i32 s15, 0x7fff
	s_movk_i32 s16, 0x3fff
	v_mov_b32_e32 v19, 0x7fc0
	v_mov_b32_e32 v20, 0x7fc00000
	v_mov_b64_e32 v[6:7], v[4:5]
	v_mov_b32_e32 v4, v0
	s_branch .LBB3_65
.LBB3_64:                               ;   in Loop: Header=BB3_65 Depth=1
	v_bfe_u32 v8, v21, 16, 1
	v_bfe_u32 v9, v22, 16, 1
	v_add3_u32 v8, v21, v8, s15
	v_cmp_o_f32_e32 vcc, v21, v21
	v_add3_u32 v9, v22, v9, s15
	v_and_b32_e32 v9, 0xffff0000, v9
	v_cndmask_b32_sdwa v8, v19, v8, vcc dst_sel:DWORD dst_unused:UNUSED_PAD src0_sel:DWORD src1_sel:WORD_1
	v_cmp_o_f32_e32 vcc, v22, v22
	v_bfe_u32 v10, v15, 16, 1
	v_add3_u32 v10, v15, v10, s15
	v_cndmask_b32_e32 v9, v20, v9, vcc
	v_or_b32_e32 v8, v9, v8
	v_bfe_u32 v9, v14, 16, 1
	v_add3_u32 v9, v14, v9, s15
	v_lshrrev_b32_e32 v9, 16, v9
	v_cmp_o_f32_e32 vcc, v14, v14
	v_and_b32_e32 v10, 0xffff0000, v10
	v_cmp_lt_u32_e64 s[8:9], s16, v18
	v_cndmask_b32_e32 v9, v19, v9, vcc
	v_cmp_o_f32_e32 vcc, v15, v15
	v_or3_b32 v8, v8, 0, 0
	v_add_u32_e32 v4, s14, v4
	v_cndmask_b32_e32 v10, v20, v10, vcc
	v_cmp_le_u64_e32 vcc, s[22:23], v[6:7]
	s_or_b64 s[8:9], vcc, s[8:9]
	v_or3_b32 v9, 0, v9, v10
	s_and_b64 s[8:9], exec, s[8:9]
	global_store_dwordx2 v[0:1], v[8:9], off
	v_add_u32_e32 v18, s14, v18
	v_lshl_add_u64 v[6:7], v[6:7], 0, s[12:13]
	s_or_b64 s[10:11], s[8:9], s[10:11]
	v_mov_b64_e32 v[0:1], v[4:5]
	s_andn2_b64 exec, exec, s[10:11]
	s_cbranch_execz .LBB3_75
.LBB3_65:                               ; =>This Inner Loop Header: Depth=1
	v_lshlrev_b64 v[0:1], 3, v[0:1]
	v_lshl_add_u64 v[8:9], s[26:27], 0, v[0:1]
	v_lshl_add_u64 v[12:13], s[24:25], 0, v[0:1]
	global_load_dwordx2 v[10:11], v[8:9], off
	v_lshl_add_u64 v[0:1], s[28:29], 0, v[0:1]
	global_load_dwordx2 v[16:17], v[12:13], off
	global_load_dwordx2 v[14:15], v[0:1], off
	s_and_b64 vcc, exec, s[6:7]
	s_waitcnt vmcnt(2)
	v_lshlrev_b32_e32 v21, 16, v10
	s_cbranch_vccnz .LBB3_67
; %bb.66:                               ;   in Loop: Header=BB3_65 Depth=1
	global_load_dword v22, v5, s[20:21]
	v_and_b32_e32 v10, 0xffff0000, v10
	s_waitcnt vmcnt(0)
	v_div_scale_f32 v23, s[8:9], v22, v22, v21
	v_rcp_f32_e32 v24, v23
	v_div_scale_f32 v25, vcc, v21, v22, v21
	v_fma_f32 v26, -v23, v24, 1.0
	v_fmac_f32_e32 v24, v26, v24
	v_mul_f32_e32 v26, v25, v24
	v_fma_f32 v27, -v23, v26, v25
	v_fmac_f32_e32 v26, v27, v24
	v_fma_f32 v23, -v23, v26, v25
	v_div_fmas_f32 v23, v23, v24, v26
	v_div_fixup_f32 v21, v23, v22, v21
	v_bfe_u32 v22, v21, 16, 1
	v_cmp_o_f32_e32 vcc, v21, v21
	v_add3_u32 v22, v21, v22, s15
	s_nop 0
	v_cndmask_b32_sdwa v22, v19, v22, vcc dst_sel:DWORD dst_unused:UNUSED_PAD src0_sel:DWORD src1_sel:WORD_1
	v_or_b32_e32 v10, v22, v10
.LBB3_67:                               ;   in Loop: Header=BB3_65 Depth=1
	s_and_b64 vcc, exec, s[6:7]
	v_and_b32_e32 v22, 0xffff0000, v10
	s_cbranch_vccnz .LBB3_69
; %bb.68:                               ;   in Loop: Header=BB3_65 Depth=1
	global_load_dword v23, v5, s[20:21]
	s_waitcnt vmcnt(0)
	v_div_scale_f32 v24, s[8:9], v23, v23, v22
	v_rcp_f32_e32 v25, v24
	v_div_scale_f32 v26, vcc, v22, v23, v22
	v_fma_f32 v27, -v24, v25, 1.0
	v_fmac_f32_e32 v25, v27, v25
	v_mul_f32_e32 v27, v26, v25
	v_fma_f32 v28, -v24, v27, v26
	v_fmac_f32_e32 v27, v28, v25
	v_fma_f32 v24, -v24, v27, v26
	v_div_fmas_f32 v24, v24, v25, v27
	v_div_fixup_f32 v22, v24, v23, v22
	v_bfe_u32 v23, v22, 16, 1
	v_add3_u32 v23, v22, v23, s15
	v_and_b32_e32 v23, 0xffff0000, v23
	v_cmp_o_f32_e32 vcc, v22, v22
	s_nop 1
	v_cndmask_b32_e32 v23, v20, v23, vcc
	v_or_b32_sdwa v10, v23, v10 dst_sel:DWORD dst_unused:UNUSED_PAD src0_sel:DWORD src1_sel:WORD_0
.LBB3_69:                               ;   in Loop: Header=BB3_65 Depth=1
	v_alignbit_b32 v23, v11, v10, 16
	s_and_b64 vcc, exec, s[6:7]
	v_and_b32_e32 v23, 0xffff0000, v23
	s_cbranch_vccnz .LBB3_71
; %bb.70:                               ;   in Loop: Header=BB3_65 Depth=1
	global_load_dword v24, v5, s[20:21]
	v_and_b32_e32 v11, 0xffff0000, v11
	s_waitcnt vmcnt(0)
	v_div_scale_f32 v25, s[8:9], v24, v24, v23
	v_rcp_f32_e32 v26, v25
	v_div_scale_f32 v27, vcc, v23, v24, v23
	v_fma_f32 v28, -v25, v26, 1.0
	v_fmac_f32_e32 v26, v28, v26
	v_mul_f32_e32 v28, v27, v26
	v_fma_f32 v29, -v25, v28, v27
	v_fmac_f32_e32 v28, v29, v26
	v_fma_f32 v25, -v25, v28, v27
	v_div_fmas_f32 v25, v25, v26, v28
	v_div_fixup_f32 v23, v25, v24, v23
	v_bfe_u32 v24, v23, 16, 1
	v_cmp_o_f32_e32 vcc, v23, v23
	v_add3_u32 v24, v23, v24, s15
	s_nop 0
	v_cndmask_b32_sdwa v24, v19, v24, vcc dst_sel:DWORD dst_unused:UNUSED_PAD src0_sel:DWORD src1_sel:WORD_1
	v_or_b32_e32 v11, v24, v11
.LBB3_71:                               ;   in Loop: Header=BB3_65 Depth=1
	s_and_b64 vcc, exec, s[6:7]
	v_and_b32_e32 v24, 0xffff0000, v11
	s_cbranch_vccnz .LBB3_73
; %bb.72:                               ;   in Loop: Header=BB3_65 Depth=1
	global_load_dword v25, v5, s[20:21]
	s_waitcnt vmcnt(0)
	v_div_scale_f32 v26, s[8:9], v25, v25, v24
	v_rcp_f32_e32 v27, v26
	v_div_scale_f32 v28, vcc, v24, v25, v24
	v_fma_f32 v29, -v26, v27, 1.0
	v_fmac_f32_e32 v27, v29, v27
	v_mul_f32_e32 v29, v28, v27
	v_fma_f32 v30, -v26, v29, v28
	v_fmac_f32_e32 v29, v30, v27
	v_fma_f32 v26, -v26, v29, v28
	v_div_fmas_f32 v26, v26, v27, v29
	v_div_fixup_f32 v24, v26, v25, v24
	v_bfe_u32 v25, v24, 16, 1
	v_add3_u32 v25, v24, v25, s15
	v_and_b32_e32 v25, 0xffff0000, v25
	v_cmp_o_f32_e32 vcc, v24, v24
	s_nop 1
	v_cndmask_b32_e32 v25, v20, v25, vcc
	v_or_b32_sdwa v11, v25, v11 dst_sel:DWORD dst_unused:UNUSED_PAD src0_sel:DWORD src1_sel:WORD_0
.LBB3_73:                               ;   in Loop: Header=BB3_65 Depth=1
	s_waitcnt vmcnt(1)
	v_lshlrev_b32_e32 v25, 16, v16
	v_cndmask_b32_e64 v21, v21, -v21, s[18:19]
	v_fma_f32 v26, v45, v25, v21
	v_cndmask_b32_e64 v27, v21, v26, s[0:1]
	s_waitcnt vmcnt(0)
	v_lshlrev_b32_e32 v26, 16, v14
	v_pk_mul_f32 v[28:29], v[2:3], v[26:27]
	v_and_b32_e32 v30, 0xffff0000, v16
	v_add_f32_e32 v21, v28, v29
	v_cndmask_b32_e64 v21, v21, v27, s[2:3]
	v_fmac_f32_e32 v27, v21, v2
	v_cndmask_b32_e64 v26, v21, v27, s[4:5]
	v_fma_f32 v25, -v44, v26, v25
	v_bfe_u32 v26, v25, 16, 1
	v_add3_u32 v26, v25, v26, s15
	v_lshrrev_b32_e32 v26, 16, v26
	v_cmp_o_f32_e32 vcc, v25, v25
	v_cndmask_b32_e64 v22, v22, -v22, s[18:19]
	v_alignbit_b32 v16, v17, v16, 16
	v_cndmask_b32_e32 v25, v19, v26, vcc
	v_fma_f32 v26, v45, v30, v22
	v_cndmask_b32_e64 v27, v22, v26, s[0:1]
	v_and_b32_e32 v26, 0xffff0000, v14
	v_pk_mul_f32 v[28:29], v[2:3], v[26:27]
	v_and_b32_e32 v16, 0xffff0000, v16
	v_add_f32_e32 v22, v28, v29
	v_cndmask_b32_e64 v22, v22, v27, s[2:3]
	v_fmac_f32_e32 v27, v22, v2
	v_cndmask_b32_e64 v26, v22, v27, s[4:5]
	v_fma_f32 v26, -v44, v26, v30
	v_bfe_u32 v27, v26, 16, 1
	v_add3_u32 v27, v26, v27, s15
	v_and_b32_e32 v27, 0xffff0000, v27
	v_cmp_o_f32_e32 vcc, v26, v26
	v_cndmask_b32_e64 v23, v23, -v23, s[18:19]
	v_alignbit_b32 v14, v15, v14, 16
	v_cndmask_b32_e32 v26, v20, v27, vcc
	v_or_b32_e32 v30, v26, v25
	v_fma_f32 v25, v45, v16, v23
	v_cndmask_b32_e64 v27, v23, v25, s[0:1]
	v_and_b32_e32 v26, 0xffff0000, v14
	v_pk_mul_f32 v[28:29], v[2:3], v[26:27]
	v_and_b32_e32 v26, 0xffff0000, v17
	v_add_f32_e32 v14, v28, v29
	v_cndmask_b32_e64 v14, v14, v27, s[2:3]
	v_fmac_f32_e32 v27, v14, v2
	v_cndmask_b32_e64 v23, v14, v27, s[4:5]
	v_fma_f32 v16, -v44, v23, v16
	v_bfe_u32 v23, v16, 16, 1
	v_add3_u32 v23, v16, v23, s15
	v_cmp_o_f32_e32 vcc, v16, v16
	v_cndmask_b32_e64 v16, v24, -v24, s[18:19]
	v_fma_f32 v17, v45, v26, v16
	v_cndmask_b32_e64 v17, v16, v17, s[0:1]
	v_and_b32_e32 v16, 0xffff0000, v15
	v_pk_mul_f32 v[24:25], v[2:3], v[16:17]
	v_lshrrev_b32_e32 v23, 16, v23
	v_add_f32_e32 v15, v24, v25
	v_cndmask_b32_e64 v15, v15, v17, s[2:3]
	v_fmac_f32_e32 v17, v15, v2
	v_cndmask_b32_e64 v16, v15, v17, s[4:5]
	v_fma_f32 v16, -v44, v16, v26
	v_bfe_u32 v17, v16, 16, 1
	v_add3_u32 v17, v16, v17, s15
	v_cndmask_b32_e32 v23, v19, v23, vcc
	v_and_b32_e32 v17, 0xffff0000, v17
	v_cmp_o_f32_e32 vcc, v16, v16
	s_nop 1
	v_cndmask_b32_e32 v16, v20, v17, vcc
	v_or3_b32 v17, 0, v23, v16
	v_or3_b32 v16, v30, 0, 0
	s_and_b64 vcc, exec, s[6:7]
	global_store_dwordx2 v[12:13], v[16:17], off
	s_cbranch_vccnz .LBB3_64
; %bb.74:                               ;   in Loop: Header=BB3_65 Depth=1
	global_store_dwordx2 v[8:9], v[10:11], off
	s_branch .LBB3_64
.LBB3_75:
	s_endpgm
.LBB3_76:
                                        ; implicit-def: $sgpr8
	s_load_dword s14, s[2:3], 0x740
	v_mov_b32_e32 v44, s8
	s_branch .LBB3_5
	.section	.rodata,"a",@progbits
	.p2align	6, 0x0
	.amdhsa_kernel _ZN2at6native12_GLOBAL__N_125multi_tensor_apply_kernelINS1_18TensorListMetadataILi3EEENS1_19FusedSgdMathFunctorIN3c108BFloat16ELi3EEEJddPfddbbbS9_S9_EEEvT_T0_DpT1_
		.amdhsa_group_segment_fixed_size 0
		.amdhsa_private_segment_fixed_size 0
		.amdhsa_kernarg_size 3472
		.amdhsa_user_sgpr_count 2
		.amdhsa_user_sgpr_dispatch_ptr 0
		.amdhsa_user_sgpr_queue_ptr 0
		.amdhsa_user_sgpr_kernarg_segment_ptr 1
		.amdhsa_user_sgpr_dispatch_id 0
		.amdhsa_user_sgpr_kernarg_preload_length 0
		.amdhsa_user_sgpr_kernarg_preload_offset 0
		.amdhsa_user_sgpr_private_segment_size 0
		.amdhsa_uses_dynamic_stack 0
		.amdhsa_enable_private_segment 0
		.amdhsa_system_sgpr_workgroup_id_x 1
		.amdhsa_system_sgpr_workgroup_id_y 0
		.amdhsa_system_sgpr_workgroup_id_z 0
		.amdhsa_system_sgpr_workgroup_info 0
		.amdhsa_system_vgpr_workitem_id 0
		.amdhsa_next_free_vgpr 56
		.amdhsa_next_free_sgpr 48
		.amdhsa_accum_offset 56
		.amdhsa_reserve_vcc 1
		.amdhsa_float_round_mode_32 0
		.amdhsa_float_round_mode_16_64 0
		.amdhsa_float_denorm_mode_32 3
		.amdhsa_float_denorm_mode_16_64 3
		.amdhsa_dx10_clamp 1
		.amdhsa_ieee_mode 1
		.amdhsa_fp16_overflow 0
		.amdhsa_tg_split 0
		.amdhsa_exception_fp_ieee_invalid_op 0
		.amdhsa_exception_fp_denorm_src 0
		.amdhsa_exception_fp_ieee_div_zero 0
		.amdhsa_exception_fp_ieee_overflow 0
		.amdhsa_exception_fp_ieee_underflow 0
		.amdhsa_exception_fp_ieee_inexact 0
		.amdhsa_exception_int_div_zero 0
	.end_amdhsa_kernel
	.section	.text._ZN2at6native12_GLOBAL__N_125multi_tensor_apply_kernelINS1_18TensorListMetadataILi3EEENS1_19FusedSgdMathFunctorIN3c108BFloat16ELi3EEEJddPfddbbbS9_S9_EEEvT_T0_DpT1_,"axG",@progbits,_ZN2at6native12_GLOBAL__N_125multi_tensor_apply_kernelINS1_18TensorListMetadataILi3EEENS1_19FusedSgdMathFunctorIN3c108BFloat16ELi3EEEJddPfddbbbS9_S9_EEEvT_T0_DpT1_,comdat
.Lfunc_end3:
	.size	_ZN2at6native12_GLOBAL__N_125multi_tensor_apply_kernelINS1_18TensorListMetadataILi3EEENS1_19FusedSgdMathFunctorIN3c108BFloat16ELi3EEEJddPfddbbbS9_S9_EEEvT_T0_DpT1_, .Lfunc_end3-_ZN2at6native12_GLOBAL__N_125multi_tensor_apply_kernelINS1_18TensorListMetadataILi3EEENS1_19FusedSgdMathFunctorIN3c108BFloat16ELi3EEEJddPfddbbbS9_S9_EEEvT_T0_DpT1_
                                        ; -- End function
	.set _ZN2at6native12_GLOBAL__N_125multi_tensor_apply_kernelINS1_18TensorListMetadataILi3EEENS1_19FusedSgdMathFunctorIN3c108BFloat16ELi3EEEJddPfddbbbS9_S9_EEEvT_T0_DpT1_.num_vgpr, 56
	.set _ZN2at6native12_GLOBAL__N_125multi_tensor_apply_kernelINS1_18TensorListMetadataILi3EEENS1_19FusedSgdMathFunctorIN3c108BFloat16ELi3EEEJddPfddbbbS9_S9_EEEvT_T0_DpT1_.num_agpr, 0
	.set _ZN2at6native12_GLOBAL__N_125multi_tensor_apply_kernelINS1_18TensorListMetadataILi3EEENS1_19FusedSgdMathFunctorIN3c108BFloat16ELi3EEEJddPfddbbbS9_S9_EEEvT_T0_DpT1_.numbered_sgpr, 48
	.set _ZN2at6native12_GLOBAL__N_125multi_tensor_apply_kernelINS1_18TensorListMetadataILi3EEENS1_19FusedSgdMathFunctorIN3c108BFloat16ELi3EEEJddPfddbbbS9_S9_EEEvT_T0_DpT1_.num_named_barrier, 0
	.set _ZN2at6native12_GLOBAL__N_125multi_tensor_apply_kernelINS1_18TensorListMetadataILi3EEENS1_19FusedSgdMathFunctorIN3c108BFloat16ELi3EEEJddPfddbbbS9_S9_EEEvT_T0_DpT1_.private_seg_size, 0
	.set _ZN2at6native12_GLOBAL__N_125multi_tensor_apply_kernelINS1_18TensorListMetadataILi3EEENS1_19FusedSgdMathFunctorIN3c108BFloat16ELi3EEEJddPfddbbbS9_S9_EEEvT_T0_DpT1_.uses_vcc, 1
	.set _ZN2at6native12_GLOBAL__N_125multi_tensor_apply_kernelINS1_18TensorListMetadataILi3EEENS1_19FusedSgdMathFunctorIN3c108BFloat16ELi3EEEJddPfddbbbS9_S9_EEEvT_T0_DpT1_.uses_flat_scratch, 0
	.set _ZN2at6native12_GLOBAL__N_125multi_tensor_apply_kernelINS1_18TensorListMetadataILi3EEENS1_19FusedSgdMathFunctorIN3c108BFloat16ELi3EEEJddPfddbbbS9_S9_EEEvT_T0_DpT1_.has_dyn_sized_stack, 0
	.set _ZN2at6native12_GLOBAL__N_125multi_tensor_apply_kernelINS1_18TensorListMetadataILi3EEENS1_19FusedSgdMathFunctorIN3c108BFloat16ELi3EEEJddPfddbbbS9_S9_EEEvT_T0_DpT1_.has_recursion, 0
	.set _ZN2at6native12_GLOBAL__N_125multi_tensor_apply_kernelINS1_18TensorListMetadataILi3EEENS1_19FusedSgdMathFunctorIN3c108BFloat16ELi3EEEJddPfddbbbS9_S9_EEEvT_T0_DpT1_.has_indirect_call, 0
	.section	.AMDGPU.csdata,"",@progbits
; Kernel info:
; codeLenInByte = 4460
; TotalNumSgprs: 54
; NumVgprs: 56
; NumAgprs: 0
; TotalNumVgprs: 56
; ScratchSize: 0
; MemoryBound: 0
; FloatMode: 240
; IeeeMode: 1
; LDSByteSize: 0 bytes/workgroup (compile time only)
; SGPRBlocks: 6
; VGPRBlocks: 6
; NumSGPRsForWavesPerEU: 54
; NumVGPRsForWavesPerEU: 56
; AccumOffset: 56
; Occupancy: 8
; WaveLimiterHint : 0
; COMPUTE_PGM_RSRC2:SCRATCH_EN: 0
; COMPUTE_PGM_RSRC2:USER_SGPR: 2
; COMPUTE_PGM_RSRC2:TRAP_HANDLER: 0
; COMPUTE_PGM_RSRC2:TGID_X_EN: 1
; COMPUTE_PGM_RSRC2:TGID_Y_EN: 0
; COMPUTE_PGM_RSRC2:TGID_Z_EN: 0
; COMPUTE_PGM_RSRC2:TIDIG_COMP_CNT: 0
; COMPUTE_PGM_RSRC3_GFX90A:ACCUM_OFFSET: 13
; COMPUTE_PGM_RSRC3_GFX90A:TG_SPLIT: 0
	.section	.text._ZN2at6native12_GLOBAL__N_125multi_tensor_apply_kernelINS1_18TensorListMetadataILi2EEENS1_19FusedSgdMathFunctorIdLi2EEEJddPfddbbbS7_S7_EEEvT_T0_DpT1_,"axG",@progbits,_ZN2at6native12_GLOBAL__N_125multi_tensor_apply_kernelINS1_18TensorListMetadataILi2EEENS1_19FusedSgdMathFunctorIdLi2EEEJddPfddbbbS7_S7_EEEvT_T0_DpT1_,comdat
	.globl	_ZN2at6native12_GLOBAL__N_125multi_tensor_apply_kernelINS1_18TensorListMetadataILi2EEENS1_19FusedSgdMathFunctorIdLi2EEEJddPfddbbbS7_S7_EEEvT_T0_DpT1_ ; -- Begin function _ZN2at6native12_GLOBAL__N_125multi_tensor_apply_kernelINS1_18TensorListMetadataILi2EEENS1_19FusedSgdMathFunctorIdLi2EEEJddPfddbbbS7_S7_EEEvT_T0_DpT1_
	.p2align	8
	.type	_ZN2at6native12_GLOBAL__N_125multi_tensor_apply_kernelINS1_18TensorListMetadataILi2EEENS1_19FusedSgdMathFunctorIdLi2EEEJddPfddbbbS7_S7_EEEvT_T0_DpT1_,@function
_ZN2at6native12_GLOBAL__N_125multi_tensor_apply_kernelINS1_18TensorListMetadataILi2EEENS1_19FusedSgdMathFunctorIdLi2EEEJddPfddbbbS7_S7_EEEvT_T0_DpT1_: ; @_ZN2at6native12_GLOBAL__N_125multi_tensor_apply_kernelINS1_18TensorListMetadataILi2EEENS1_19FusedSgdMathFunctorIdLi2EEEJddPfddbbbS7_S7_EEEvT_T0_DpT1_
; %bb.0:
	s_load_dwordx4 s[16:19], s[0:1], 0xc80
	s_waitcnt lgkmcnt(0)
	s_cmp_eq_u64 s[18:19], 0
	s_cselect_b64 s[4:5], -1, 0
	s_and_b64 vcc, exec, s[4:5]
	s_cbranch_vccnz .LBB4_2
; %bb.1:
	s_load_dword s3, s[18:19], 0x0
	s_waitcnt lgkmcnt(0)
	v_cmp_neq_f32_e64 s[4:5], s3, 1.0
.LBB4_2:
	s_andn2_b64 vcc, exec, s[4:5]
	s_cbranch_vccnz .LBB4_58
; %bb.3:
	v_mov_b32_e32 v1, s2
	global_load_ubyte v1, v1, s[0:1] offset:1536
	s_load_dwordx4 s[4:7], s[0:1], 0xc60
	s_add_u32 s3, s0, s2
	s_mul_hi_u32 s8, s2, 3
	s_mul_i32 s2, s2, 3
	s_addc_u32 s9, s1, 0
	s_add_u32 s2, s3, s2
	s_addc_u32 s3, s9, s8
	s_load_dword s12, s[2:3], 0x740
	s_mov_b32 s11, 0
	s_waitcnt lgkmcnt(0)
	s_cmp_eq_u64 s[4:5], 0
	v_mov_b64_e32 v[20:21], s[6:7]
	s_waitcnt vmcnt(0)
	v_readfirstlane_b32 s8, v1
	s_cbranch_scc1 .LBB4_5
; %bb.4:
	s_load_dword s2, s[4:5], 0x0
	s_waitcnt lgkmcnt(0)
	v_cvt_f64_f32_e32 v[20:21], s2
.LBB4_5:
	s_load_dword s2, s[0:1], 0xc78
	s_waitcnt lgkmcnt(0)
	s_bitcmp1_b32 s2, 8
	s_cselect_b64 s[2:3], -1, 0
	s_and_b32 s4, s8, 0xff
	s_lshl_b32 s10, s4, 3
	s_load_dwordx2 s[4:5], s[0:1], s10 offset:0x400
	s_ashr_i32 s13, s12, 31
	s_load_dwordx2 s[18:19], s[0:1], 0xc50
	s_load_dwordx2 s[6:7], s[0:1], s10 offset:0x0
	s_load_dwordx2 s[8:9], s[0:1], s10 offset:0x200
	s_lshl_b64 s[14:15], s[12:13], 16
	s_waitcnt lgkmcnt(0)
	s_sub_u32 s20, s4, s14
	s_subb_u32 s21, s5, s15
	s_lshl_b64 s[26:27], s[12:13], 19
	s_add_u32 s22, s6, s26
	s_addc_u32 s23, s7, s27
	s_and_b32 s10, s22, 31
	s_add_u32 s24, s8, s26
	s_addc_u32 s25, s9, s27
	s_and_b32 s12, s24, 31
	s_mov_b32 s13, s11
	s_and_b32 s4, s4, 3
	s_mov_b32 s5, s11
	s_or_b64 s[4:5], s[4:5], s[12:13]
	s_or_b64 s[4:5], s[4:5], s[10:11]
	s_cmp_eq_u64 s[4:5], 0
	s_mov_b64 s[4:5], -1
	s_cbranch_scc1 .LBB4_44
; %bb.6:
	v_cmp_lt_i64_e64 s[4:5], s[20:21], 1
	s_and_b64 vcc, exec, s[4:5]
	s_cbranch_vccnz .LBB4_43
; %bb.7:
	s_load_dword s10, s[0:1], 0xc9c
	v_mov_b64_e32 v[2:3], 0x10000
	v_cmp_lt_i64_e32 vcc, s[20:21], v[2:3]
	s_and_b64 s[4:5], vcc, exec
	s_cselect_b32 s29, s21, 0
	s_cselect_b32 s28, s20, 0x10000
	s_waitcnt lgkmcnt(0)
	s_and_b32 s10, s10, 0xffff
	s_lshl_b32 s12, s10, 1
	v_mov_b32_e32 v1, 0
	s_mul_i32 s14, s10, 3
	s_mov_b32 s15, s11
	s_cmp_lg_u64 s[16:17], 0
	s_cselect_b64 s[34:35], -1, 0
	v_lshlrev_b32_e32 v12, 3, v0
	v_mov_b32_e32 v13, v1
	v_lshl_add_u64 v[10:11], s[14:15], 0, v[0:1]
	s_lshl_b32 s14, s10, 4
	v_lshl_add_u64 v[18:19], v[0:1], 0, s[10:11]
	s_mov_b32 s13, s11
	v_mad_u64_u32 v[8:9], s[38:39], s10, 24, v[12:13]
	v_lshl_add_u64 v[14:15], s[14:15], 0, v[12:13]
	v_lshlrev_b32_e32 v24, 3, v18
	v_mov_b32_e32 v25, v1
	s_mov_b64 s[30:31], 0
	v_cmp_neq_f64_e64 s[4:5], s[18:19], 0
	s_lshl_b32 s33, s10, 2
	v_lshl_add_u64 v[2:3], s[6:7], 0, v[12:13]
	s_lshl_b32 s36, s10, 5
	s_mov_b32 s37, s11
	v_lshl_add_u64 v[4:5], s[8:9], 0, v[12:13]
	v_lshl_add_u64 v[6:7], s[6:7], 0, v[8:9]
	;; [unrolled: 1-line block ×8, first 2 shown]
	s_branch .LBB4_10
.LBB4_8:                                ;   in Loop: Header=BB4_10 Depth=1
	s_or_b64 exec, exec, s[6:7]
.LBB4_9:                                ;   in Loop: Header=BB4_10 Depth=1
	s_add_u32 s30, s30, s33
	s_addc_u32 s31, s31, 0
	s_waitcnt vmcnt(0)
	v_mov_b64_e32 v[26:27], s[28:29]
	v_cmp_lt_i64_e32 vcc, s[30:31], v[26:27]
	v_lshl_add_u64 v[2:3], v[2:3], 0, s[36:37]
	v_lshl_add_u64 v[4:5], v[4:5], 0, s[36:37]
	;; [unrolled: 1-line block ×8, first 2 shown]
	s_cbranch_vccz .LBB4_43
.LBB4_10:                               ; =>This Inner Loop Header: Depth=1
	v_lshl_add_u64 v[26:27], v[0:1], 0, s[30:31]
	v_cmp_gt_i64_e64 s[6:7], s[28:29], v[26:27]
	v_mov_b64_e32 v[26:27], 0
	v_mov_b64_e32 v[28:29], 0
	;; [unrolled: 1-line block ×3, first 2 shown]
	s_and_saveexec_b64 s[8:9], s[6:7]
	s_cbranch_execz .LBB4_12
; %bb.11:                               ;   in Loop: Header=BB4_10 Depth=1
	v_lshl_add_u64 v[32:33], v[2:3], 0, s[26:27]
	v_lshl_add_u64 v[30:31], v[4:5], 0, s[26:27]
	global_load_dwordx2 v[34:35], v[32:33], off
	global_load_dwordx2 v[28:29], v[30:31], off
.LBB4_12:                               ;   in Loop: Header=BB4_10 Depth=1
	s_or_b64 exec, exec, s[8:9]
	v_lshl_add_u64 v[30:31], v[18:19], 0, s[30:31]
	v_cmp_gt_i64_e64 s[8:9], s[28:29], v[30:31]
	v_mov_b64_e32 v[36:37], 0
	s_and_saveexec_b64 s[10:11], s[8:9]
	s_cbranch_execz .LBB4_14
; %bb.13:                               ;   in Loop: Header=BB4_10 Depth=1
	v_lshl_add_u64 v[32:33], v[22:23], 0, s[26:27]
	v_lshl_add_u64 v[30:31], v[24:25], 0, s[26:27]
	global_load_dwordx2 v[36:37], v[32:33], off
	global_load_dwordx2 v[26:27], v[30:31], off
.LBB4_14:                               ;   in Loop: Header=BB4_10 Depth=1
	s_or_b64 exec, exec, s[10:11]
	v_lshl_add_u64 v[30:31], v[16:17], 0, s[30:31]
	v_cmp_gt_i64_e64 s[10:11], s[28:29], v[30:31]
	v_mov_b64_e32 v[30:31], 0
	v_mov_b64_e32 v[32:33], 0
	;; [unrolled: 1-line block ×3, first 2 shown]
	s_and_saveexec_b64 s[12:13], s[10:11]
	s_cbranch_execz .LBB4_16
; %bb.15:                               ;   in Loop: Header=BB4_10 Depth=1
	v_lshl_add_u64 v[42:43], v[12:13], 0, s[26:27]
	v_lshl_add_u64 v[40:41], v[14:15], 0, s[26:27]
	global_load_dwordx2 v[38:39], v[42:43], off
	global_load_dwordx2 v[32:33], v[40:41], off
.LBB4_16:                               ;   in Loop: Header=BB4_10 Depth=1
	s_or_b64 exec, exec, s[12:13]
	v_lshl_add_u64 v[40:41], v[10:11], 0, s[30:31]
	v_cmp_gt_i64_e64 s[12:13], s[28:29], v[40:41]
	v_mov_b64_e32 v[40:41], 0
	s_and_saveexec_b64 s[14:15], s[12:13]
	s_cbranch_execz .LBB4_18
; %bb.17:                               ;   in Loop: Header=BB4_10 Depth=1
	v_lshl_add_u64 v[44:45], v[6:7], 0, s[26:27]
	v_lshl_add_u64 v[42:43], v[8:9], 0, s[26:27]
	global_load_dwordx2 v[40:41], v[44:45], off
	global_load_dwordx2 v[30:31], v[42:43], off
.LBB4_18:                               ;   in Loop: Header=BB4_10 Depth=1
	s_or_b64 exec, exec, s[14:15]
	v_cndmask_b32_e64 v42, 0, 1, s[34:35]
	v_cmp_ne_u32_e64 s[14:15], 1, v42
	s_andn2_b64 vcc, exec, s[34:35]
	s_cbranch_vccnz .LBB4_20
; %bb.19:                               ;   in Loop: Header=BB4_10 Depth=1
	s_load_dword s38, s[16:17], 0x0
	s_waitcnt lgkmcnt(0)
	v_cvt_f64_f32_e32 v[42:43], s38
	s_waitcnt vmcnt(0)
	v_div_scale_f64 v[44:45], s[38:39], v[42:43], v[42:43], v[28:29]
	v_rcp_f64_e32 v[46:47], v[44:45]
	v_div_scale_f64 v[48:49], vcc, v[28:29], v[42:43], v[28:29]
	v_fma_f64 v[50:51], -v[44:45], v[46:47], 1.0
	v_fmac_f64_e32 v[46:47], v[46:47], v[50:51]
	v_fma_f64 v[50:51], -v[44:45], v[46:47], 1.0
	v_fmac_f64_e32 v[46:47], v[46:47], v[50:51]
	v_mul_f64 v[50:51], v[48:49], v[46:47]
	v_fma_f64 v[44:45], -v[44:45], v[50:51], v[48:49]
	v_div_fmas_f64 v[44:45], v[44:45], v[46:47], v[50:51]
	v_div_fixup_f64 v[28:29], v[44:45], v[42:43], v[28:29]
.LBB4_20:                               ;   in Loop: Header=BB4_10 Depth=1
	s_and_b64 vcc, exec, s[14:15]
	s_cbranch_vccnz .LBB4_22
; %bb.21:                               ;   in Loop: Header=BB4_10 Depth=1
	s_load_dword s38, s[16:17], 0x0
	s_waitcnt lgkmcnt(0)
	v_cvt_f64_f32_e32 v[42:43], s38
	s_waitcnt vmcnt(0)
	v_div_scale_f64 v[44:45], s[38:39], v[42:43], v[42:43], v[26:27]
	v_rcp_f64_e32 v[46:47], v[44:45]
	v_div_scale_f64 v[48:49], vcc, v[26:27], v[42:43], v[26:27]
	v_fma_f64 v[50:51], -v[44:45], v[46:47], 1.0
	v_fmac_f64_e32 v[46:47], v[46:47], v[50:51]
	v_fma_f64 v[50:51], -v[44:45], v[46:47], 1.0
	v_fmac_f64_e32 v[46:47], v[46:47], v[50:51]
	v_mul_f64 v[50:51], v[48:49], v[46:47]
	v_fma_f64 v[44:45], -v[44:45], v[50:51], v[48:49]
	v_div_fmas_f64 v[44:45], v[44:45], v[46:47], v[50:51]
	v_div_fixup_f64 v[26:27], v[44:45], v[42:43], v[26:27]
.LBB4_22:                               ;   in Loop: Header=BB4_10 Depth=1
	s_and_b64 vcc, exec, s[14:15]
	;; [unrolled: 19-line block ×3, first 2 shown]
	s_cbranch_vccnz .LBB4_26
; %bb.25:                               ;   in Loop: Header=BB4_10 Depth=1
	s_load_dword s38, s[16:17], 0x0
	s_waitcnt lgkmcnt(0)
	v_cvt_f64_f32_e32 v[42:43], s38
	s_waitcnt vmcnt(0)
	v_div_scale_f64 v[44:45], s[38:39], v[42:43], v[42:43], v[30:31]
	v_rcp_f64_e32 v[46:47], v[44:45]
	v_div_scale_f64 v[48:49], vcc, v[30:31], v[42:43], v[30:31]
	v_fma_f64 v[50:51], -v[44:45], v[46:47], 1.0
	v_fmac_f64_e32 v[46:47], v[46:47], v[50:51]
	v_fma_f64 v[50:51], -v[44:45], v[46:47], 1.0
	v_fmac_f64_e32 v[46:47], v[46:47], v[50:51]
	v_mul_f64 v[50:51], v[48:49], v[46:47]
	v_fma_f64 v[44:45], -v[44:45], v[50:51], v[48:49]
	v_div_fmas_f64 v[44:45], v[44:45], v[46:47], v[50:51]
	v_div_fixup_f64 v[30:31], v[44:45], v[42:43], v[30:31]
.LBB4_26:                               ;   in Loop: Header=BB4_10 Depth=1
	s_and_saveexec_b64 s[38:39], s[6:7]
	s_cbranch_execnz .LBB4_31
; %bb.27:                               ;   in Loop: Header=BB4_10 Depth=1
	s_or_b64 exec, exec, s[38:39]
	s_and_saveexec_b64 s[38:39], s[8:9]
	s_cbranch_execnz .LBB4_32
.LBB4_28:                               ;   in Loop: Header=BB4_10 Depth=1
	s_or_b64 exec, exec, s[38:39]
	s_and_saveexec_b64 s[38:39], s[10:11]
	s_cbranch_execnz .LBB4_33
.LBB4_29:                               ;   in Loop: Header=BB4_10 Depth=1
	s_or_b64 exec, exec, s[38:39]
	s_and_saveexec_b64 s[38:39], s[12:13]
	s_cbranch_execnz .LBB4_34
.LBB4_30:                               ;   in Loop: Header=BB4_10 Depth=1
	s_or_b64 exec, exec, s[38:39]
	s_and_b64 vcc, exec, s[14:15]
	s_cbranch_vccz .LBB4_35
	s_branch .LBB4_9
.LBB4_31:                               ;   in Loop: Header=BB4_10 Depth=1
	s_waitcnt vmcnt(0)
	v_xor_b32_e32 v42, 0x80000000, v29
	v_cndmask_b32_e64 v43, v29, v42, s[2:3]
	v_mov_b32_e32 v42, v28
	v_mov_b64_e32 v[44:45], v[42:43]
	v_fmac_f64_e32 v[44:45], s[18:19], v[34:35]
	v_cndmask_b32_e64 v43, v43, v45, s[4:5]
	v_cndmask_b32_e64 v42, v28, v44, s[4:5]
	v_fma_f64 v[34:35], -v[20:21], v[42:43], v[34:35]
	v_lshl_add_u64 v[42:43], v[2:3], 0, s[26:27]
	global_store_dwordx2 v[42:43], v[34:35], off
	s_or_b64 exec, exec, s[38:39]
	s_and_saveexec_b64 s[38:39], s[8:9]
	s_cbranch_execz .LBB4_28
.LBB4_32:                               ;   in Loop: Header=BB4_10 Depth=1
	s_waitcnt vmcnt(0)
	v_xor_b32_e32 v34, 0x80000000, v27
	v_cndmask_b32_e64 v35, v27, v34, s[2:3]
	v_mov_b32_e32 v34, v26
	v_mov_b64_e32 v[42:43], v[34:35]
	v_fmac_f64_e32 v[42:43], s[18:19], v[36:37]
	v_cndmask_b32_e64 v35, v35, v43, s[4:5]
	v_cndmask_b32_e64 v34, v26, v42, s[4:5]
	v_fma_f64 v[34:35], -v[20:21], v[34:35], v[36:37]
	v_lshl_add_u64 v[36:37], v[22:23], 0, s[26:27]
	global_store_dwordx2 v[36:37], v[34:35], off
	s_or_b64 exec, exec, s[38:39]
	s_and_saveexec_b64 s[38:39], s[10:11]
	s_cbranch_execz .LBB4_29
.LBB4_33:                               ;   in Loop: Header=BB4_10 Depth=1
	s_waitcnt vmcnt(0)
	v_xor_b32_e32 v34, 0x80000000, v33
	v_cndmask_b32_e64 v35, v33, v34, s[2:3]
	v_mov_b32_e32 v34, v32
	v_mov_b64_e32 v[36:37], v[34:35]
	v_fmac_f64_e32 v[36:37], s[18:19], v[38:39]
	v_cndmask_b32_e64 v35, v35, v37, s[4:5]
	v_cndmask_b32_e64 v34, v32, v36, s[4:5]
	v_fma_f64 v[34:35], -v[20:21], v[34:35], v[38:39]
	v_lshl_add_u64 v[36:37], v[12:13], 0, s[26:27]
	global_store_dwordx2 v[36:37], v[34:35], off
	s_or_b64 exec, exec, s[38:39]
	s_and_saveexec_b64 s[38:39], s[12:13]
	s_cbranch_execz .LBB4_30
.LBB4_34:                               ;   in Loop: Header=BB4_10 Depth=1
	s_waitcnt vmcnt(0)
	v_xor_b32_e32 v34, 0x80000000, v31
	v_cndmask_b32_e64 v35, v31, v34, s[2:3]
	v_mov_b32_e32 v34, v30
	v_mov_b64_e32 v[36:37], v[34:35]
	v_fmac_f64_e32 v[36:37], s[18:19], v[40:41]
	v_cndmask_b32_e64 v35, v35, v37, s[4:5]
	v_cndmask_b32_e64 v34, v30, v36, s[4:5]
	v_fma_f64 v[34:35], -v[20:21], v[34:35], v[40:41]
	v_lshl_add_u64 v[36:37], v[6:7], 0, s[26:27]
	global_store_dwordx2 v[36:37], v[34:35], off
	s_or_b64 exec, exec, s[38:39]
	s_and_b64 vcc, exec, s[14:15]
	s_cbranch_vccnz .LBB4_9
.LBB4_35:                               ;   in Loop: Header=BB4_10 Depth=1
	s_and_saveexec_b64 s[14:15], s[6:7]
	s_cbranch_execnz .LBB4_39
; %bb.36:                               ;   in Loop: Header=BB4_10 Depth=1
	s_or_b64 exec, exec, s[14:15]
	s_and_saveexec_b64 s[6:7], s[8:9]
	s_cbranch_execnz .LBB4_40
.LBB4_37:                               ;   in Loop: Header=BB4_10 Depth=1
	s_or_b64 exec, exec, s[6:7]
	s_and_saveexec_b64 s[6:7], s[10:11]
	s_cbranch_execnz .LBB4_41
.LBB4_38:                               ;   in Loop: Header=BB4_10 Depth=1
	s_or_b64 exec, exec, s[6:7]
	s_and_saveexec_b64 s[6:7], s[12:13]
	s_cbranch_execz .LBB4_8
	s_branch .LBB4_42
.LBB4_39:                               ;   in Loop: Header=BB4_10 Depth=1
	s_waitcnt vmcnt(1)
	v_lshl_add_u64 v[34:35], v[4:5], 0, s[26:27]
	s_waitcnt vmcnt(0)
	global_store_dwordx2 v[34:35], v[28:29], off
	s_or_b64 exec, exec, s[14:15]
	s_and_saveexec_b64 s[6:7], s[8:9]
	s_cbranch_execz .LBB4_37
.LBB4_40:                               ;   in Loop: Header=BB4_10 Depth=1
	s_waitcnt vmcnt(0)
	v_lshl_add_u64 v[28:29], v[24:25], 0, s[26:27]
	global_store_dwordx2 v[28:29], v[26:27], off
	s_or_b64 exec, exec, s[6:7]
	s_and_saveexec_b64 s[6:7], s[10:11]
	s_cbranch_execz .LBB4_38
.LBB4_41:                               ;   in Loop: Header=BB4_10 Depth=1
	s_waitcnt vmcnt(0)
	v_lshl_add_u64 v[26:27], v[14:15], 0, s[26:27]
	global_store_dwordx2 v[26:27], v[32:33], off
	s_or_b64 exec, exec, s[6:7]
	s_and_saveexec_b64 s[6:7], s[12:13]
	s_cbranch_execz .LBB4_8
.LBB4_42:                               ;   in Loop: Header=BB4_10 Depth=1
	s_waitcnt vmcnt(0)
	v_lshl_add_u64 v[26:27], v[8:9], 0, s[26:27]
	global_store_dwordx2 v[26:27], v[30:31], off
	s_branch .LBB4_8
.LBB4_43:
	s_mov_b64 s[4:5], 0
.LBB4_44:
	s_andn2_b64 vcc, exec, s[4:5]
	s_cbranch_vccnz .LBB4_58
; %bb.45:
	v_mov_b32_e32 v23, 0
	v_lshlrev_b32_e32 v22, 2, v0
	v_cmp_gt_i64_e32 vcc, s[20:21], v[22:23]
	s_and_saveexec_b64 s[4:5], vcc
	s_cbranch_execz .LBB4_58
; %bb.46:
	s_load_dword s6, s[0:1], 0xc9c
	s_cmp_lg_u64 s[16:17], 0
	s_cselect_b64 s[4:5], -1, 0
	v_cndmask_b32_e64 v2, 0, 1, s[4:5]
	v_mov_b32_e32 v1, v23
	s_waitcnt lgkmcnt(0)
	s_and_b32 s12, s6, 0xffff
	v_add_lshl_u32 v22, v0, s12, 2
	s_mov_b64 s[8:9], 0
	v_cmp_neq_f64_e64 s[0:1], s[18:19], 0
	v_add_u32_e32 v30, s12, v0
	s_mov_b32 s11, 0
	s_lshl_b32 s10, s12, 2
	v_cmp_ne_u32_e64 s[4:5], 1, v2
	s_movk_i32 s13, 0x3fff
	v_mov_b64_e32 v[24:25], v[22:23]
	v_mov_b32_e32 v22, v0
	s_branch .LBB4_48
.LBB4_47:                               ;   in Loop: Header=BB4_48 Depth=1
	v_cmp_le_u64_e32 vcc, s[20:21], v[24:25]
	v_cmp_lt_u32_e64 s[6:7], s13, v30
	s_or_b64 s[6:7], vcc, s[6:7]
	v_add_u32_e32 v22, s12, v22
	s_and_b64 s[6:7], exec, s[6:7]
	v_add_u32_e32 v30, s12, v30
	v_lshl_add_u64 v[24:25], v[24:25], 0, s[10:11]
	s_or_b64 s[8:9], s[6:7], s[8:9]
	v_mov_b64_e32 v[0:1], v[22:23]
	s_andn2_b64 exec, exec, s[8:9]
	s_cbranch_execz .LBB4_58
.LBB4_48:                               ; =>This Inner Loop Header: Depth=1
	v_lshlrev_b64 v[4:5], 5, v[0:1]
	v_lshl_add_u64 v[26:27], s[22:23], 0, v[4:5]
	v_lshl_add_u64 v[28:29], s[24:25], 0, v[4:5]
	global_load_dwordx4 v[0:3], v[26:27], off offset:16
	global_load_dwordx4 v[12:15], v[26:27], off
	global_load_dwordx4 v[4:7], v[28:29], off offset:16
	global_load_dwordx4 v[8:11], v[28:29], off
	s_and_b64 vcc, exec, s[4:5]
	s_cbranch_vccnz .LBB4_50
; %bb.49:                               ;   in Loop: Header=BB4_48 Depth=1
	global_load_dword v16, v23, s[16:17]
	s_waitcnt vmcnt(0)
	v_cvt_f64_f32_e32 v[16:17], v16
	v_div_scale_f64 v[18:19], s[6:7], v[16:17], v[16:17], v[8:9]
	v_rcp_f64_e32 v[32:33], v[18:19]
	v_div_scale_f64 v[34:35], vcc, v[8:9], v[16:17], v[8:9]
	v_fma_f64 v[36:37], -v[18:19], v[32:33], 1.0
	v_fmac_f64_e32 v[32:33], v[32:33], v[36:37]
	v_fma_f64 v[36:37], -v[18:19], v[32:33], 1.0
	v_fmac_f64_e32 v[32:33], v[32:33], v[36:37]
	v_mul_f64 v[36:37], v[34:35], v[32:33]
	v_fma_f64 v[18:19], -v[18:19], v[36:37], v[34:35]
	v_div_fmas_f64 v[18:19], v[18:19], v[32:33], v[36:37]
	v_div_fixup_f64 v[8:9], v[18:19], v[16:17], v[8:9]
.LBB4_50:                               ;   in Loop: Header=BB4_48 Depth=1
	s_and_b64 vcc, exec, s[4:5]
	s_cbranch_vccnz .LBB4_52
; %bb.51:                               ;   in Loop: Header=BB4_48 Depth=1
	global_load_dword v16, v23, s[16:17]
	s_waitcnt vmcnt(0)
	v_cvt_f64_f32_e32 v[16:17], v16
	v_div_scale_f64 v[18:19], s[6:7], v[16:17], v[16:17], v[10:11]
	v_rcp_f64_e32 v[32:33], v[18:19]
	v_div_scale_f64 v[34:35], vcc, v[10:11], v[16:17], v[10:11]
	v_fma_f64 v[36:37], -v[18:19], v[32:33], 1.0
	v_fmac_f64_e32 v[32:33], v[32:33], v[36:37]
	v_fma_f64 v[36:37], -v[18:19], v[32:33], 1.0
	v_fmac_f64_e32 v[32:33], v[32:33], v[36:37]
	v_mul_f64 v[36:37], v[34:35], v[32:33]
	v_fma_f64 v[18:19], -v[18:19], v[36:37], v[34:35]
	v_div_fmas_f64 v[18:19], v[18:19], v[32:33], v[36:37]
	v_div_fixup_f64 v[10:11], v[18:19], v[16:17], v[10:11]
.LBB4_52:                               ;   in Loop: Header=BB4_48 Depth=1
	;; [unrolled: 18-line block ×3, first 2 shown]
	s_waitcnt vmcnt(0)
	v_xor_b32_e32 v16, 0x80000000, v11
	v_cndmask_b32_e64 v17, v11, v16, s[2:3]
	v_mov_b32_e32 v16, v10
	v_mov_b64_e32 v[18:19], v[16:17]
	v_fmac_f64_e32 v[18:19], s[18:19], v[14:15]
	v_cndmask_b32_e64 v17, v17, v19, s[0:1]
	v_cndmask_b32_e64 v16, v10, v18, s[0:1]
	v_fma_f64 v[14:15], -v[20:21], v[16:17], v[14:15]
	v_xor_b32_e32 v16, 0x80000000, v9
	v_cndmask_b32_e64 v17, v9, v16, s[2:3]
	v_mov_b32_e32 v16, v8
	v_mov_b64_e32 v[18:19], v[16:17]
	v_fmac_f64_e32 v[18:19], s[18:19], v[12:13]
	v_cndmask_b32_e64 v17, v17, v19, s[0:1]
	v_cndmask_b32_e64 v16, v8, v18, s[0:1]
	v_fma_f64 v[12:13], -v[20:21], v[16:17], v[12:13]
	v_xor_b32_e32 v16, 0x80000000, v5
	v_cndmask_b32_e64 v17, v5, v16, s[2:3]
	v_mov_b32_e32 v16, v4
	v_mov_b64_e32 v[18:19], v[16:17]
	v_fmac_f64_e32 v[18:19], s[18:19], v[0:1]
	v_cndmask_b32_e64 v17, v17, v19, s[0:1]
	v_cndmask_b32_e64 v16, v4, v18, s[0:1]
	s_and_b64 vcc, exec, s[4:5]
	v_fma_f64 v[16:17], -v[20:21], v[16:17], v[0:1]
	s_cbranch_vccnz .LBB4_56
; %bb.55:                               ;   in Loop: Header=BB4_48 Depth=1
	global_load_dword v0, v23, s[16:17]
	v_mov_b32_e32 v32, v4
	v_mov_b32_e32 v33, v5
	global_store_dwordx4 v[26:27], v[12:15], off
	s_waitcnt vmcnt(1)
	v_cvt_f64_f32_e32 v[0:1], v0
	v_div_scale_f64 v[18:19], s[6:7], v[0:1], v[0:1], v[6:7]
	v_rcp_f64_e32 v[34:35], v[18:19]
	v_div_scale_f64 v[4:5], vcc, v[6:7], v[0:1], v[6:7]
	v_fma_f64 v[36:37], -v[18:19], v[34:35], 1.0
	v_fmac_f64_e32 v[34:35], v[34:35], v[36:37]
	v_fma_f64 v[36:37], -v[18:19], v[34:35], 1.0
	v_fmac_f64_e32 v[34:35], v[34:35], v[36:37]
	v_mul_f64 v[36:37], v[4:5], v[34:35]
	v_fma_f64 v[4:5], -v[18:19], v[36:37], v[4:5]
	v_div_fmas_f64 v[4:5], v[4:5], v[34:35], v[36:37]
	v_div_fixup_f64 v[34:35], v[4:5], v[0:1], v[6:7]
	v_xor_b32_e32 v1, 0x80000000, v35
	v_mov_b32_e32 v0, v34
	v_cndmask_b32_e64 v1, v35, v1, s[2:3]
	v_mov_b64_e32 v[4:5], v[0:1]
	v_fmac_f64_e32 v[4:5], s[18:19], v[2:3]
	v_cndmask_b32_e64 v1, v1, v5, s[0:1]
	v_cndmask_b32_e64 v0, v34, v4, s[0:1]
	v_fma_f64 v[18:19], -v[20:21], v[0:1], v[2:3]
	global_store_dwordx4 v[26:27], v[16:19], off offset:16
	global_store_dwordx4 v[28:29], v[8:11], off
	global_store_dwordx4 v[28:29], v[32:35], off offset:16
	s_cbranch_execnz .LBB4_47
	s_branch .LBB4_57
.LBB4_56:                               ;   in Loop: Header=BB4_48 Depth=1
.LBB4_57:                               ;   in Loop: Header=BB4_48 Depth=1
	v_xor_b32_e32 v0, 0x80000000, v7
	v_cndmask_b32_e64 v7, v7, v0, s[2:3]
	v_mov_b64_e32 v[0:1], v[6:7]
	v_fmac_f64_e32 v[0:1], s[18:19], v[2:3]
	v_cndmask_b32_e64 v1, v7, v1, s[0:1]
	v_cndmask_b32_e64 v0, v6, v0, s[0:1]
	v_fma_f64 v[18:19], -v[20:21], v[0:1], v[2:3]
	global_store_dwordx4 v[26:27], v[12:15], off
	global_store_dwordx4 v[26:27], v[16:19], off offset:16
	s_branch .LBB4_47
.LBB4_58:
	s_endpgm
	.section	.rodata,"a",@progbits
	.p2align	6, 0x0
	.amdhsa_kernel _ZN2at6native12_GLOBAL__N_125multi_tensor_apply_kernelINS1_18TensorListMetadataILi2EEENS1_19FusedSgdMathFunctorIdLi2EEEJddPfddbbbS7_S7_EEEvT_T0_DpT1_
		.amdhsa_group_segment_fixed_size 0
		.amdhsa_private_segment_fixed_size 0
		.amdhsa_kernarg_size 3472
		.amdhsa_user_sgpr_count 2
		.amdhsa_user_sgpr_dispatch_ptr 0
		.amdhsa_user_sgpr_queue_ptr 0
		.amdhsa_user_sgpr_kernarg_segment_ptr 1
		.amdhsa_user_sgpr_dispatch_id 0
		.amdhsa_user_sgpr_kernarg_preload_length 0
		.amdhsa_user_sgpr_kernarg_preload_offset 0
		.amdhsa_user_sgpr_private_segment_size 0
		.amdhsa_uses_dynamic_stack 0
		.amdhsa_enable_private_segment 0
		.amdhsa_system_sgpr_workgroup_id_x 1
		.amdhsa_system_sgpr_workgroup_id_y 0
		.amdhsa_system_sgpr_workgroup_id_z 0
		.amdhsa_system_sgpr_workgroup_info 0
		.amdhsa_system_vgpr_workitem_id 0
		.amdhsa_next_free_vgpr 52
		.amdhsa_next_free_sgpr 40
		.amdhsa_accum_offset 52
		.amdhsa_reserve_vcc 1
		.amdhsa_float_round_mode_32 0
		.amdhsa_float_round_mode_16_64 0
		.amdhsa_float_denorm_mode_32 3
		.amdhsa_float_denorm_mode_16_64 3
		.amdhsa_dx10_clamp 1
		.amdhsa_ieee_mode 1
		.amdhsa_fp16_overflow 0
		.amdhsa_tg_split 0
		.amdhsa_exception_fp_ieee_invalid_op 0
		.amdhsa_exception_fp_denorm_src 0
		.amdhsa_exception_fp_ieee_div_zero 0
		.amdhsa_exception_fp_ieee_overflow 0
		.amdhsa_exception_fp_ieee_underflow 0
		.amdhsa_exception_fp_ieee_inexact 0
		.amdhsa_exception_int_div_zero 0
	.end_amdhsa_kernel
	.section	.text._ZN2at6native12_GLOBAL__N_125multi_tensor_apply_kernelINS1_18TensorListMetadataILi2EEENS1_19FusedSgdMathFunctorIdLi2EEEJddPfddbbbS7_S7_EEEvT_T0_DpT1_,"axG",@progbits,_ZN2at6native12_GLOBAL__N_125multi_tensor_apply_kernelINS1_18TensorListMetadataILi2EEENS1_19FusedSgdMathFunctorIdLi2EEEJddPfddbbbS7_S7_EEEvT_T0_DpT1_,comdat
.Lfunc_end4:
	.size	_ZN2at6native12_GLOBAL__N_125multi_tensor_apply_kernelINS1_18TensorListMetadataILi2EEENS1_19FusedSgdMathFunctorIdLi2EEEJddPfddbbbS7_S7_EEEvT_T0_DpT1_, .Lfunc_end4-_ZN2at6native12_GLOBAL__N_125multi_tensor_apply_kernelINS1_18TensorListMetadataILi2EEENS1_19FusedSgdMathFunctorIdLi2EEEJddPfddbbbS7_S7_EEEvT_T0_DpT1_
                                        ; -- End function
	.set _ZN2at6native12_GLOBAL__N_125multi_tensor_apply_kernelINS1_18TensorListMetadataILi2EEENS1_19FusedSgdMathFunctorIdLi2EEEJddPfddbbbS7_S7_EEEvT_T0_DpT1_.num_vgpr, 52
	.set _ZN2at6native12_GLOBAL__N_125multi_tensor_apply_kernelINS1_18TensorListMetadataILi2EEENS1_19FusedSgdMathFunctorIdLi2EEEJddPfddbbbS7_S7_EEEvT_T0_DpT1_.num_agpr, 0
	.set _ZN2at6native12_GLOBAL__N_125multi_tensor_apply_kernelINS1_18TensorListMetadataILi2EEENS1_19FusedSgdMathFunctorIdLi2EEEJddPfddbbbS7_S7_EEEvT_T0_DpT1_.numbered_sgpr, 40
	.set _ZN2at6native12_GLOBAL__N_125multi_tensor_apply_kernelINS1_18TensorListMetadataILi2EEENS1_19FusedSgdMathFunctorIdLi2EEEJddPfddbbbS7_S7_EEEvT_T0_DpT1_.num_named_barrier, 0
	.set _ZN2at6native12_GLOBAL__N_125multi_tensor_apply_kernelINS1_18TensorListMetadataILi2EEENS1_19FusedSgdMathFunctorIdLi2EEEJddPfddbbbS7_S7_EEEvT_T0_DpT1_.private_seg_size, 0
	.set _ZN2at6native12_GLOBAL__N_125multi_tensor_apply_kernelINS1_18TensorListMetadataILi2EEENS1_19FusedSgdMathFunctorIdLi2EEEJddPfddbbbS7_S7_EEEvT_T0_DpT1_.uses_vcc, 1
	.set _ZN2at6native12_GLOBAL__N_125multi_tensor_apply_kernelINS1_18TensorListMetadataILi2EEENS1_19FusedSgdMathFunctorIdLi2EEEJddPfddbbbS7_S7_EEEvT_T0_DpT1_.uses_flat_scratch, 0
	.set _ZN2at6native12_GLOBAL__N_125multi_tensor_apply_kernelINS1_18TensorListMetadataILi2EEENS1_19FusedSgdMathFunctorIdLi2EEEJddPfddbbbS7_S7_EEEvT_T0_DpT1_.has_dyn_sized_stack, 0
	.set _ZN2at6native12_GLOBAL__N_125multi_tensor_apply_kernelINS1_18TensorListMetadataILi2EEENS1_19FusedSgdMathFunctorIdLi2EEEJddPfddbbbS7_S7_EEEvT_T0_DpT1_.has_recursion, 0
	.set _ZN2at6native12_GLOBAL__N_125multi_tensor_apply_kernelINS1_18TensorListMetadataILi2EEENS1_19FusedSgdMathFunctorIdLi2EEEJddPfddbbbS7_S7_EEEvT_T0_DpT1_.has_indirect_call, 0
	.section	.AMDGPU.csdata,"",@progbits
; Kernel info:
; codeLenInByte = 2872
; TotalNumSgprs: 46
; NumVgprs: 52
; NumAgprs: 0
; TotalNumVgprs: 52
; ScratchSize: 0
; MemoryBound: 1
; FloatMode: 240
; IeeeMode: 1
; LDSByteSize: 0 bytes/workgroup (compile time only)
; SGPRBlocks: 5
; VGPRBlocks: 6
; NumSGPRsForWavesPerEU: 46
; NumVGPRsForWavesPerEU: 52
; AccumOffset: 52
; Occupancy: 8
; WaveLimiterHint : 0
; COMPUTE_PGM_RSRC2:SCRATCH_EN: 0
; COMPUTE_PGM_RSRC2:USER_SGPR: 2
; COMPUTE_PGM_RSRC2:TRAP_HANDLER: 0
; COMPUTE_PGM_RSRC2:TGID_X_EN: 1
; COMPUTE_PGM_RSRC2:TGID_Y_EN: 0
; COMPUTE_PGM_RSRC2:TGID_Z_EN: 0
; COMPUTE_PGM_RSRC2:TIDIG_COMP_CNT: 0
; COMPUTE_PGM_RSRC3_GFX90A:ACCUM_OFFSET: 12
; COMPUTE_PGM_RSRC3_GFX90A:TG_SPLIT: 0
	.section	.text._ZN2at6native12_GLOBAL__N_125multi_tensor_apply_kernelINS1_18TensorListMetadataILi2EEENS1_19FusedSgdMathFunctorIfLi2EEEJddPfddbbbS7_S7_EEEvT_T0_DpT1_,"axG",@progbits,_ZN2at6native12_GLOBAL__N_125multi_tensor_apply_kernelINS1_18TensorListMetadataILi2EEENS1_19FusedSgdMathFunctorIfLi2EEEJddPfddbbbS7_S7_EEEvT_T0_DpT1_,comdat
	.globl	_ZN2at6native12_GLOBAL__N_125multi_tensor_apply_kernelINS1_18TensorListMetadataILi2EEENS1_19FusedSgdMathFunctorIfLi2EEEJddPfddbbbS7_S7_EEEvT_T0_DpT1_ ; -- Begin function _ZN2at6native12_GLOBAL__N_125multi_tensor_apply_kernelINS1_18TensorListMetadataILi2EEENS1_19FusedSgdMathFunctorIfLi2EEEJddPfddbbbS7_S7_EEEvT_T0_DpT1_
	.p2align	8
	.type	_ZN2at6native12_GLOBAL__N_125multi_tensor_apply_kernelINS1_18TensorListMetadataILi2EEENS1_19FusedSgdMathFunctorIfLi2EEEJddPfddbbbS7_S7_EEEvT_T0_DpT1_,@function
_ZN2at6native12_GLOBAL__N_125multi_tensor_apply_kernelINS1_18TensorListMetadataILi2EEENS1_19FusedSgdMathFunctorIfLi2EEEJddPfddbbbS7_S7_EEEvT_T0_DpT1_: ; @_ZN2at6native12_GLOBAL__N_125multi_tensor_apply_kernelINS1_18TensorListMetadataILi2EEENS1_19FusedSgdMathFunctorIfLi2EEEJddPfddbbbS7_S7_EEEvT_T0_DpT1_
; %bb.0:
	s_load_dwordx4 s[16:19], s[0:1], 0xc80
	s_waitcnt lgkmcnt(0)
	s_cmp_eq_u64 s[18:19], 0
	s_cselect_b64 s[4:5], -1, 0
	s_and_b64 vcc, exec, s[4:5]
	s_cbranch_vccnz .LBB5_2
; %bb.1:
	s_load_dword s3, s[18:19], 0x0
	s_waitcnt lgkmcnt(0)
	v_cmp_neq_f32_e64 s[4:5], s3, 1.0
.LBB5_2:
	s_andn2_b64 vcc, exec, s[4:5]
	s_cbranch_vccnz .LBB5_59
; %bb.3:
	v_mov_b32_e32 v1, s2
	global_load_ubyte v1, v1, s[0:1] offset:1536
	s_load_dwordx4 s[4:7], s[0:1], 0xc60
	s_add_u32 s3, s0, s2
	s_mul_hi_u32 s8, s2, 3
	s_mul_i32 s2, s2, 3
	s_addc_u32 s9, s1, 0
	s_add_u32 s2, s3, s2
	s_addc_u32 s3, s9, s8
	s_waitcnt lgkmcnt(0)
	s_cmp_eq_u64 s[4:5], 0
	s_mov_b64 s[8:9], 0
	s_waitcnt vmcnt(0)
	v_readfirstlane_b32 s10, v1
	s_cbranch_scc1 .LBB5_60
; %bb.4:
	s_load_dword s4, s[4:5], 0x0
	s_nop 0
	s_load_dword s2, s[2:3], 0x740
	s_andn2_b64 vcc, exec, s[8:9]
	s_waitcnt lgkmcnt(0)
	v_mov_b32_e32 v24, s4
	s_cbranch_vccnz .LBB5_6
.LBB5_5:
	v_cvt_f32_f64_e32 v24, s[6:7]
.LBB5_6:
	s_load_dword s3, s[0:1], 0xc78
	s_load_dwordx2 s[4:5], s[0:1], 0xc50
	s_waitcnt lgkmcnt(0)
	s_bitcmp1_b32 s3, 8
	s_cselect_b64 s[14:15], -1, 0
	s_and_b32 s6, s10, 0xff
	s_lshl_b32 s12, s6, 3
	s_load_dwordx2 s[8:9], s[0:1], s12 offset:0x400
	s_ashr_i32 s3, s2, 31
	v_cvt_f32_f64_e32 v25, s[4:5]
	s_load_dwordx2 s[4:5], s[0:1], s12 offset:0x0
	s_load_dwordx2 s[6:7], s[0:1], s12 offset:0x200
	s_lshl_b64 s[10:11], s[2:3], 16
	s_waitcnt lgkmcnt(0)
	s_sub_u32 s18, s8, s10
	s_subb_u32 s19, s9, s11
	s_lshl_b64 s[24:25], s[2:3], 18
	s_add_u32 s20, s4, s24
	s_addc_u32 s21, s5, s25
	s_and_b32 s2, s20, 15
	s_mov_b32 s3, 0
	s_add_u32 s22, s6, s24
	s_addc_u32 s23, s7, s25
	s_and_b32 s10, s22, 15
	s_mov_b32 s11, s3
	s_and_b32 s8, s8, 3
	s_mov_b32 s9, s3
	s_or_b64 s[8:9], s[8:9], s[10:11]
	s_or_b64 s[2:3], s[8:9], s[2:3]
	s_cmp_eq_u64 s[2:3], 0
	s_mov_b64 s[2:3], -1
	s_cbranch_scc1 .LBB5_45
; %bb.7:
	v_cmp_lt_i64_e64 s[2:3], s[18:19], 1
	s_and_b64 vcc, exec, s[2:3]
	s_cbranch_vccnz .LBB5_44
; %bb.8:
	s_load_dword s8, s[0:1], 0xc9c
	v_mov_b64_e32 v[2:3], 0x10000
	v_cmp_lt_i64_e32 vcc, s[18:19], v[2:3]
	s_and_b64 s[2:3], vcc, exec
	s_cselect_b32 s27, s19, 0
	s_cselect_b32 s26, s18, 0x10000
	s_waitcnt lgkmcnt(0)
	s_and_b32 s8, s8, 0xffff
	s_mov_b32 s9, 0
	s_lshl_b32 s10, s8, 1
	v_mov_b32_e32 v1, 0
	s_mul_i32 s12, s8, 3
	s_mov_b32 s13, s9
	s_cmp_lg_u64 s[16:17], 0
	s_cselect_b64 s[30:31], -1, 0
	v_lshlrev_b32_e32 v12, 2, v0
	v_mov_b32_e32 v13, v1
	v_lshl_add_u64 v[10:11], s[12:13], 0, v[0:1]
	s_lshl_b32 s12, s8, 3
	v_lshl_add_u64 v[18:19], v[0:1], 0, s[8:9]
	s_mov_b32 s11, s9
	v_mad_u64_u32 v[8:9], s[36:37], s8, 12, v[12:13]
	v_lshl_add_u64 v[14:15], s[12:13], 0, v[12:13]
	v_lshlrev_b32_e32 v22, 2, v18
	v_mov_b32_e32 v23, v1
	s_mov_b64 s[28:29], 0
	v_cmp_neq_f32_e64 s[2:3], 0, v25
	s_lshl_b32 s33, s8, 2
	v_lshl_add_u64 v[2:3], s[4:5], 0, v[12:13]
	s_lshl_b32 s34, s8, 4
	s_mov_b32 s35, s9
	v_lshl_add_u64 v[4:5], s[6:7], 0, v[12:13]
	v_lshl_add_u64 v[6:7], s[4:5], 0, v[8:9]
	;; [unrolled: 1-line block ×8, first 2 shown]
	s_branch .LBB5_11
.LBB5_9:                                ;   in Loop: Header=BB5_11 Depth=1
	s_or_b64 exec, exec, s[4:5]
.LBB5_10:                               ;   in Loop: Header=BB5_11 Depth=1
	s_add_u32 s28, s28, s33
	s_addc_u32 s29, s29, 0
	s_waitcnt vmcnt(0)
	v_mov_b64_e32 v[26:27], s[26:27]
	v_cmp_lt_i64_e32 vcc, s[28:29], v[26:27]
	v_lshl_add_u64 v[2:3], v[2:3], 0, s[34:35]
	v_lshl_add_u64 v[4:5], v[4:5], 0, s[34:35]
	;; [unrolled: 1-line block ×8, first 2 shown]
	s_cbranch_vccz .LBB5_44
.LBB5_11:                               ; =>This Inner Loop Header: Depth=1
	v_lshl_add_u64 v[26:27], v[0:1], 0, s[28:29]
	v_cmp_gt_i64_e64 s[4:5], s[26:27], v[26:27]
	v_mov_b32_e32 v26, 0
	v_mov_b32_e32 v30, 0
	s_and_saveexec_b64 s[6:7], s[4:5]
	s_cbranch_execz .LBB5_13
; %bb.12:                               ;   in Loop: Header=BB5_11 Depth=1
	v_lshl_add_u64 v[32:33], v[2:3], 0, s[24:25]
	v_lshl_add_u64 v[28:29], v[4:5], 0, s[24:25]
	global_load_dword v30, v[32:33], off
	global_load_dword v26, v[28:29], off
.LBB5_13:                               ;   in Loop: Header=BB5_11 Depth=1
	s_or_b64 exec, exec, s[6:7]
	v_lshl_add_u64 v[28:29], v[18:19], 0, s[28:29]
	v_cmp_gt_i64_e64 s[6:7], s[26:27], v[28:29]
	v_mov_b32_e32 v27, 0
	v_mov_b32_e32 v28, 0
	;; [unrolled: 1-line block ×3, first 2 shown]
	s_and_saveexec_b64 s[8:9], s[6:7]
	s_cbranch_execz .LBB5_15
; %bb.14:                               ;   in Loop: Header=BB5_11 Depth=1
	v_lshl_add_u64 v[34:35], v[20:21], 0, s[24:25]
	v_lshl_add_u64 v[32:33], v[22:23], 0, s[24:25]
	global_load_dword v31, v[34:35], off
	global_load_dword v28, v[32:33], off
.LBB5_15:                               ;   in Loop: Header=BB5_11 Depth=1
	s_or_b64 exec, exec, s[8:9]
	v_lshl_add_u64 v[32:33], v[16:17], 0, s[28:29]
	v_cmp_gt_i64_e64 s[8:9], s[26:27], v[32:33]
	v_mov_b32_e32 v32, 0
	s_and_saveexec_b64 s[10:11], s[8:9]
	s_cbranch_execz .LBB5_17
; %bb.16:                               ;   in Loop: Header=BB5_11 Depth=1
	v_lshl_add_u64 v[36:37], v[12:13], 0, s[24:25]
	v_lshl_add_u64 v[34:35], v[14:15], 0, s[24:25]
	global_load_dword v32, v[36:37], off
	global_load_dword v27, v[34:35], off
.LBB5_17:                               ;   in Loop: Header=BB5_11 Depth=1
	s_or_b64 exec, exec, s[10:11]
	v_lshl_add_u64 v[34:35], v[10:11], 0, s[28:29]
	v_cmp_gt_i64_e64 s[10:11], s[26:27], v[34:35]
	v_mov_b32_e32 v29, 0
	v_mov_b32_e32 v33, 0
	s_and_saveexec_b64 s[12:13], s[10:11]
	s_cbranch_execz .LBB5_19
; %bb.18:                               ;   in Loop: Header=BB5_11 Depth=1
	v_lshl_add_u64 v[36:37], v[6:7], 0, s[24:25]
	v_lshl_add_u64 v[34:35], v[8:9], 0, s[24:25]
	global_load_dword v33, v[36:37], off
	global_load_dword v29, v[34:35], off
.LBB5_19:                               ;   in Loop: Header=BB5_11 Depth=1
	s_or_b64 exec, exec, s[12:13]
	v_cndmask_b32_e64 v34, 0, 1, s[30:31]
	v_cmp_ne_u32_e64 s[12:13], 1, v34
	s_andn2_b64 vcc, exec, s[30:31]
	s_cbranch_vccnz .LBB5_21
; %bb.20:                               ;   in Loop: Header=BB5_11 Depth=1
	global_load_dword v34, v1, s[16:17]
	s_waitcnt vmcnt(0)
	v_div_scale_f32 v35, s[36:37], v34, v34, v26
	v_rcp_f32_e32 v36, v35
	v_div_scale_f32 v37, vcc, v26, v34, v26
	v_fma_f32 v38, -v35, v36, 1.0
	v_fmac_f32_e32 v36, v38, v36
	v_mul_f32_e32 v38, v37, v36
	v_fma_f32 v39, -v35, v38, v37
	v_fmac_f32_e32 v38, v39, v36
	v_fma_f32 v35, -v35, v38, v37
	v_div_fmas_f32 v35, v35, v36, v38
	v_div_fixup_f32 v26, v35, v34, v26
.LBB5_21:                               ;   in Loop: Header=BB5_11 Depth=1
	s_and_b64 vcc, exec, s[12:13]
	s_cbranch_vccnz .LBB5_23
; %bb.22:                               ;   in Loop: Header=BB5_11 Depth=1
	global_load_dword v34, v1, s[16:17]
	s_waitcnt vmcnt(0)
	v_div_scale_f32 v35, s[36:37], v34, v34, v28
	v_rcp_f32_e32 v36, v35
	v_div_scale_f32 v37, vcc, v28, v34, v28
	v_fma_f32 v38, -v35, v36, 1.0
	v_fmac_f32_e32 v36, v38, v36
	v_mul_f32_e32 v38, v37, v36
	v_fma_f32 v39, -v35, v38, v37
	v_fmac_f32_e32 v38, v39, v36
	v_fma_f32 v35, -v35, v38, v37
	v_div_fmas_f32 v35, v35, v36, v38
	v_div_fixup_f32 v28, v35, v34, v28
.LBB5_23:                               ;   in Loop: Header=BB5_11 Depth=1
	s_and_b64 vcc, exec, s[12:13]
	s_cbranch_vccnz .LBB5_25
; %bb.24:                               ;   in Loop: Header=BB5_11 Depth=1
	global_load_dword v34, v1, s[16:17]
	s_waitcnt vmcnt(0)
	v_div_scale_f32 v35, s[36:37], v34, v34, v27
	v_rcp_f32_e32 v36, v35
	v_div_scale_f32 v37, vcc, v27, v34, v27
	v_fma_f32 v38, -v35, v36, 1.0
	v_fmac_f32_e32 v36, v38, v36
	v_mul_f32_e32 v38, v37, v36
	v_fma_f32 v39, -v35, v38, v37
	v_fmac_f32_e32 v38, v39, v36
	v_fma_f32 v35, -v35, v38, v37
	v_div_fmas_f32 v35, v35, v36, v38
	v_div_fixup_f32 v27, v35, v34, v27
.LBB5_25:                               ;   in Loop: Header=BB5_11 Depth=1
	s_and_b64 vcc, exec, s[12:13]
	s_cbranch_vccnz .LBB5_27
; %bb.26:                               ;   in Loop: Header=BB5_11 Depth=1
	global_load_dword v34, v1, s[16:17]
	s_waitcnt vmcnt(0)
	v_div_scale_f32 v35, s[36:37], v34, v34, v29
	v_rcp_f32_e32 v36, v35
	v_div_scale_f32 v37, vcc, v29, v34, v29
	v_fma_f32 v38, -v35, v36, 1.0
	v_fmac_f32_e32 v36, v38, v36
	v_mul_f32_e32 v38, v37, v36
	v_fma_f32 v39, -v35, v38, v37
	v_fmac_f32_e32 v38, v39, v36
	v_fma_f32 v35, -v35, v38, v37
	v_div_fmas_f32 v35, v35, v36, v38
	v_div_fixup_f32 v29, v35, v34, v29
.LBB5_27:                               ;   in Loop: Header=BB5_11 Depth=1
	s_and_saveexec_b64 s[36:37], s[4:5]
	s_cbranch_execnz .LBB5_32
; %bb.28:                               ;   in Loop: Header=BB5_11 Depth=1
	s_or_b64 exec, exec, s[36:37]
	s_and_saveexec_b64 s[36:37], s[6:7]
	s_cbranch_execnz .LBB5_33
.LBB5_29:                               ;   in Loop: Header=BB5_11 Depth=1
	s_or_b64 exec, exec, s[36:37]
	s_and_saveexec_b64 s[36:37], s[8:9]
	s_cbranch_execnz .LBB5_34
.LBB5_30:                               ;   in Loop: Header=BB5_11 Depth=1
	s_or_b64 exec, exec, s[36:37]
	s_and_saveexec_b64 s[36:37], s[10:11]
	s_cbranch_execnz .LBB5_35
.LBB5_31:                               ;   in Loop: Header=BB5_11 Depth=1
	s_or_b64 exec, exec, s[36:37]
	s_and_b64 vcc, exec, s[12:13]
	s_cbranch_vccz .LBB5_36
	s_branch .LBB5_10
.LBB5_32:                               ;   in Loop: Header=BB5_11 Depth=1
	s_waitcnt vmcnt(0)
	v_cndmask_b32_e64 v34, v26, -v26, s[14:15]
	v_fma_f32 v35, v30, v25, v34
	v_cndmask_b32_e64 v34, v34, v35, s[2:3]
	v_fma_f32 v30, -v24, v34, v30
	v_lshl_add_u64 v[34:35], v[2:3], 0, s[24:25]
	global_store_dword v[34:35], v30, off
	s_or_b64 exec, exec, s[36:37]
	s_and_saveexec_b64 s[36:37], s[6:7]
	s_cbranch_execz .LBB5_29
.LBB5_33:                               ;   in Loop: Header=BB5_11 Depth=1
	s_waitcnt vmcnt(0)
	v_cndmask_b32_e64 v30, v28, -v28, s[14:15]
	v_fma_f32 v34, v31, v25, v30
	v_cndmask_b32_e64 v30, v30, v34, s[2:3]
	v_fma_f32 v34, -v24, v30, v31
	v_lshl_add_u64 v[30:31], v[20:21], 0, s[24:25]
	global_store_dword v[30:31], v34, off
	s_or_b64 exec, exec, s[36:37]
	s_and_saveexec_b64 s[36:37], s[8:9]
	s_cbranch_execz .LBB5_30
.LBB5_34:                               ;   in Loop: Header=BB5_11 Depth=1
	s_waitcnt vmcnt(0)
	v_cndmask_b32_e64 v30, v27, -v27, s[14:15]
	v_fma_f32 v31, v32, v25, v30
	v_cndmask_b32_e64 v30, v30, v31, s[2:3]
	v_fma_f32 v32, -v24, v30, v32
	v_lshl_add_u64 v[30:31], v[12:13], 0, s[24:25]
	global_store_dword v[30:31], v32, off
	s_or_b64 exec, exec, s[36:37]
	s_and_saveexec_b64 s[36:37], s[10:11]
	s_cbranch_execz .LBB5_31
.LBB5_35:                               ;   in Loop: Header=BB5_11 Depth=1
	s_waitcnt vmcnt(0)
	v_cndmask_b32_e64 v30, v29, -v29, s[14:15]
	v_fma_f32 v31, v33, v25, v30
	v_cndmask_b32_e64 v30, v30, v31, s[2:3]
	v_fma_f32 v32, -v24, v30, v33
	v_lshl_add_u64 v[30:31], v[6:7], 0, s[24:25]
	global_store_dword v[30:31], v32, off
	s_or_b64 exec, exec, s[36:37]
	s_and_b64 vcc, exec, s[12:13]
	s_cbranch_vccnz .LBB5_10
.LBB5_36:                               ;   in Loop: Header=BB5_11 Depth=1
	s_and_saveexec_b64 s[12:13], s[4:5]
	s_cbranch_execnz .LBB5_40
; %bb.37:                               ;   in Loop: Header=BB5_11 Depth=1
	s_or_b64 exec, exec, s[12:13]
	s_and_saveexec_b64 s[4:5], s[6:7]
	s_cbranch_execnz .LBB5_41
.LBB5_38:                               ;   in Loop: Header=BB5_11 Depth=1
	s_or_b64 exec, exec, s[4:5]
	s_and_saveexec_b64 s[4:5], s[8:9]
	s_cbranch_execnz .LBB5_42
.LBB5_39:                               ;   in Loop: Header=BB5_11 Depth=1
	s_or_b64 exec, exec, s[4:5]
	s_and_saveexec_b64 s[4:5], s[10:11]
	s_cbranch_execz .LBB5_9
	s_branch .LBB5_43
.LBB5_40:                               ;   in Loop: Header=BB5_11 Depth=1
	s_waitcnt vmcnt(1)
	v_lshl_add_u64 v[30:31], v[4:5], 0, s[24:25]
	s_waitcnt vmcnt(0)
	global_store_dword v[30:31], v26, off
	s_or_b64 exec, exec, s[12:13]
	s_and_saveexec_b64 s[4:5], s[6:7]
	s_cbranch_execz .LBB5_38
.LBB5_41:                               ;   in Loop: Header=BB5_11 Depth=1
	s_waitcnt vmcnt(1)
	v_lshl_add_u64 v[30:31], v[22:23], 0, s[24:25]
	s_waitcnt vmcnt(0)
	global_store_dword v[30:31], v28, off
	s_or_b64 exec, exec, s[4:5]
	s_and_saveexec_b64 s[4:5], s[8:9]
	s_cbranch_execz .LBB5_39
.LBB5_42:                               ;   in Loop: Header=BB5_11 Depth=1
	s_waitcnt vmcnt(1)
	v_lshl_add_u64 v[30:31], v[14:15], 0, s[24:25]
	s_waitcnt vmcnt(0)
	global_store_dword v[30:31], v27, off
	s_or_b64 exec, exec, s[4:5]
	s_and_saveexec_b64 s[4:5], s[10:11]
	s_cbranch_execz .LBB5_9
.LBB5_43:                               ;   in Loop: Header=BB5_11 Depth=1
	s_waitcnt vmcnt(0)
	v_lshl_add_u64 v[26:27], v[8:9], 0, s[24:25]
	global_store_dword v[26:27], v29, off
	s_branch .LBB5_9
.LBB5_44:
	s_mov_b64 s[2:3], 0
.LBB5_45:
	s_andn2_b64 vcc, exec, s[2:3]
	s_cbranch_vccnz .LBB5_59
; %bb.46:
	v_mov_b32_e32 v13, 0
	v_lshlrev_b32_e32 v12, 2, v0
	v_cmp_gt_i64_e32 vcc, s[18:19], v[12:13]
	s_and_saveexec_b64 s[2:3], vcc
	s_cbranch_execz .LBB5_59
; %bb.47:
	s_load_dword s4, s[0:1], 0xc9c
	s_cmp_lg_u64 s[16:17], 0
	s_cselect_b64 s[2:3], -1, 0
	v_cndmask_b32_e64 v2, 0, 1, s[2:3]
	v_mov_b32_e32 v1, v13
	s_waitcnt lgkmcnt(0)
	s_and_b32 s10, s4, 0xffff
	v_add_lshl_u32 v12, v0, s10, 2
	s_mov_b64 s[6:7], 0
	s_mov_b32 s9, 0
	v_cmp_neq_f32_e64 s[0:1], 0, v25
	v_add_u32_e32 v20, s10, v0
	s_lshl_b32 s8, s10, 2
	v_cmp_ne_u32_e64 s[2:3], 1, v2
	s_movk_i32 s11, 0x3fff
	v_mov_b64_e32 v[14:15], v[12:13]
	v_mov_b32_e32 v12, v0
	s_branch .LBB5_49
.LBB5_48:                               ;   in Loop: Header=BB5_49 Depth=1
	v_cmp_le_u64_e32 vcc, s[18:19], v[14:15]
	v_cmp_lt_u32_e64 s[4:5], s11, v20
	s_or_b64 s[4:5], vcc, s[4:5]
	v_add_u32_e32 v12, s10, v12
	s_and_b64 s[4:5], exec, s[4:5]
	v_add_u32_e32 v20, s10, v20
	v_lshl_add_u64 v[14:15], v[14:15], 0, s[8:9]
	s_or_b64 s[6:7], s[4:5], s[6:7]
	v_mov_b64_e32 v[0:1], v[12:13]
	s_andn2_b64 exec, exec, s[6:7]
	s_cbranch_execz .LBB5_59
.LBB5_49:                               ; =>This Inner Loop Header: Depth=1
	v_lshlrev_b64 v[4:5], 4, v[0:1]
	v_lshl_add_u64 v[16:17], s[20:21], 0, v[4:5]
	v_lshl_add_u64 v[18:19], s[22:23], 0, v[4:5]
	global_load_dwordx4 v[0:3], v[16:17], off
	global_load_dwordx4 v[4:7], v[18:19], off
	s_and_b64 vcc, exec, s[2:3]
	s_cbranch_vccnz .LBB5_51
; %bb.50:                               ;   in Loop: Header=BB5_49 Depth=1
	global_load_dword v8, v13, s[16:17]
	s_waitcnt vmcnt(0)
	v_div_scale_f32 v9, s[4:5], v8, v8, v4
	v_rcp_f32_e32 v10, v9
	v_div_scale_f32 v11, vcc, v4, v8, v4
	v_fma_f32 v21, -v9, v10, 1.0
	v_fmac_f32_e32 v10, v21, v10
	v_mul_f32_e32 v21, v11, v10
	v_fma_f32 v22, -v9, v21, v11
	v_fmac_f32_e32 v21, v22, v10
	v_fma_f32 v9, -v9, v21, v11
	v_div_fmas_f32 v9, v9, v10, v21
	v_div_fixup_f32 v4, v9, v8, v4
.LBB5_51:                               ;   in Loop: Header=BB5_49 Depth=1
	s_and_b64 vcc, exec, s[2:3]
	s_cbranch_vccnz .LBB5_53
; %bb.52:                               ;   in Loop: Header=BB5_49 Depth=1
	global_load_dword v8, v13, s[16:17]
	s_waitcnt vmcnt(0)
	v_div_scale_f32 v9, s[4:5], v8, v8, v5
	v_rcp_f32_e32 v10, v9
	v_div_scale_f32 v11, vcc, v5, v8, v5
	v_fma_f32 v21, -v9, v10, 1.0
	v_fmac_f32_e32 v10, v21, v10
	v_mul_f32_e32 v21, v11, v10
	v_fma_f32 v22, -v9, v21, v11
	v_fmac_f32_e32 v21, v22, v10
	v_fma_f32 v9, -v9, v21, v11
	v_div_fmas_f32 v9, v9, v10, v21
	v_div_fixup_f32 v5, v9, v8, v5
.LBB5_53:                               ;   in Loop: Header=BB5_49 Depth=1
	;; [unrolled: 17-line block ×3, first 2 shown]
	s_waitcnt vmcnt(0)
	v_cndmask_b32_e64 v8, v5, -v5, s[14:15]
	v_fma_f32 v9, v1, v25, v8
	v_cndmask_b32_e64 v8, v8, v9, s[0:1]
	v_fma_f32 v9, -v24, v8, v1
	v_cndmask_b32_e64 v1, v4, -v4, s[14:15]
	v_fma_f32 v8, v0, v25, v1
	v_cndmask_b32_e64 v1, v1, v8, s[0:1]
	v_fma_f32 v8, -v24, v1, v0
	v_cndmask_b32_e64 v0, v6, -v6, s[14:15]
	v_fma_f32 v1, v2, v25, v0
	v_cndmask_b32_e64 v0, v0, v1, s[0:1]
	s_and_b64 vcc, exec, s[2:3]
	v_fma_f32 v10, -v24, v0, v2
	s_cbranch_vccnz .LBB5_57
; %bb.56:                               ;   in Loop: Header=BB5_49 Depth=1
	global_load_dword v0, v13, s[16:17]
	v_mov_b32_e32 v27, v5
	v_mov_b32_e32 v26, v4
	;; [unrolled: 1-line block ×3, first 2 shown]
	s_waitcnt vmcnt(0)
	v_div_scale_f32 v1, s[4:5], v0, v0, v7
	v_rcp_f32_e32 v2, v1
	v_div_scale_f32 v4, vcc, v7, v0, v7
	v_fma_f32 v5, -v1, v2, 1.0
	v_fmac_f32_e32 v2, v5, v2
	v_mul_f32_e32 v5, v4, v2
	v_fma_f32 v6, -v1, v5, v4
	v_fmac_f32_e32 v5, v6, v2
	v_fma_f32 v1, -v1, v5, v4
	v_div_fmas_f32 v1, v1, v2, v5
	v_div_fixup_f32 v29, v1, v0, v7
	v_cndmask_b32_e64 v0, v29, -v29, s[14:15]
	v_fma_f32 v1, v3, v25, v0
	v_cndmask_b32_e64 v0, v0, v1, s[0:1]
	v_fma_f32 v11, -v24, v0, v3
	global_store_dwordx4 v[16:17], v[8:11], off
	global_store_dwordx4 v[18:19], v[26:29], off
	s_cbranch_execnz .LBB5_48
	s_branch .LBB5_58
.LBB5_57:                               ;   in Loop: Header=BB5_49 Depth=1
.LBB5_58:                               ;   in Loop: Header=BB5_49 Depth=1
	v_cndmask_b32_e64 v0, v7, -v7, s[14:15]
	v_fma_f32 v1, v3, v25, v0
	v_cndmask_b32_e64 v0, v0, v1, s[0:1]
	v_fma_f32 v11, -v24, v0, v3
	global_store_dwordx4 v[16:17], v[8:11], off
	s_branch .LBB5_48
.LBB5_59:
	s_endpgm
.LBB5_60:
                                        ; implicit-def: $sgpr4
	s_load_dword s2, s[2:3], 0x740
	v_mov_b32_e32 v24, s4
	s_branch .LBB5_5
	.section	.rodata,"a",@progbits
	.p2align	6, 0x0
	.amdhsa_kernel _ZN2at6native12_GLOBAL__N_125multi_tensor_apply_kernelINS1_18TensorListMetadataILi2EEENS1_19FusedSgdMathFunctorIfLi2EEEJddPfddbbbS7_S7_EEEvT_T0_DpT1_
		.amdhsa_group_segment_fixed_size 0
		.amdhsa_private_segment_fixed_size 0
		.amdhsa_kernarg_size 3472
		.amdhsa_user_sgpr_count 2
		.amdhsa_user_sgpr_dispatch_ptr 0
		.amdhsa_user_sgpr_queue_ptr 0
		.amdhsa_user_sgpr_kernarg_segment_ptr 1
		.amdhsa_user_sgpr_dispatch_id 0
		.amdhsa_user_sgpr_kernarg_preload_length 0
		.amdhsa_user_sgpr_kernarg_preload_offset 0
		.amdhsa_user_sgpr_private_segment_size 0
		.amdhsa_uses_dynamic_stack 0
		.amdhsa_enable_private_segment 0
		.amdhsa_system_sgpr_workgroup_id_x 1
		.amdhsa_system_sgpr_workgroup_id_y 0
		.amdhsa_system_sgpr_workgroup_id_z 0
		.amdhsa_system_sgpr_workgroup_info 0
		.amdhsa_system_vgpr_workitem_id 0
		.amdhsa_next_free_vgpr 40
		.amdhsa_next_free_sgpr 38
		.amdhsa_accum_offset 40
		.amdhsa_reserve_vcc 1
		.amdhsa_float_round_mode_32 0
		.amdhsa_float_round_mode_16_64 0
		.amdhsa_float_denorm_mode_32 3
		.amdhsa_float_denorm_mode_16_64 3
		.amdhsa_dx10_clamp 1
		.amdhsa_ieee_mode 1
		.amdhsa_fp16_overflow 0
		.amdhsa_tg_split 0
		.amdhsa_exception_fp_ieee_invalid_op 0
		.amdhsa_exception_fp_denorm_src 0
		.amdhsa_exception_fp_ieee_div_zero 0
		.amdhsa_exception_fp_ieee_overflow 0
		.amdhsa_exception_fp_ieee_underflow 0
		.amdhsa_exception_fp_ieee_inexact 0
		.amdhsa_exception_int_div_zero 0
	.end_amdhsa_kernel
	.section	.text._ZN2at6native12_GLOBAL__N_125multi_tensor_apply_kernelINS1_18TensorListMetadataILi2EEENS1_19FusedSgdMathFunctorIfLi2EEEJddPfddbbbS7_S7_EEEvT_T0_DpT1_,"axG",@progbits,_ZN2at6native12_GLOBAL__N_125multi_tensor_apply_kernelINS1_18TensorListMetadataILi2EEENS1_19FusedSgdMathFunctorIfLi2EEEJddPfddbbbS7_S7_EEEvT_T0_DpT1_,comdat
.Lfunc_end5:
	.size	_ZN2at6native12_GLOBAL__N_125multi_tensor_apply_kernelINS1_18TensorListMetadataILi2EEENS1_19FusedSgdMathFunctorIfLi2EEEJddPfddbbbS7_S7_EEEvT_T0_DpT1_, .Lfunc_end5-_ZN2at6native12_GLOBAL__N_125multi_tensor_apply_kernelINS1_18TensorListMetadataILi2EEENS1_19FusedSgdMathFunctorIfLi2EEEJddPfddbbbS7_S7_EEEvT_T0_DpT1_
                                        ; -- End function
	.set _ZN2at6native12_GLOBAL__N_125multi_tensor_apply_kernelINS1_18TensorListMetadataILi2EEENS1_19FusedSgdMathFunctorIfLi2EEEJddPfddbbbS7_S7_EEEvT_T0_DpT1_.num_vgpr, 40
	.set _ZN2at6native12_GLOBAL__N_125multi_tensor_apply_kernelINS1_18TensorListMetadataILi2EEENS1_19FusedSgdMathFunctorIfLi2EEEJddPfddbbbS7_S7_EEEvT_T0_DpT1_.num_agpr, 0
	.set _ZN2at6native12_GLOBAL__N_125multi_tensor_apply_kernelINS1_18TensorListMetadataILi2EEENS1_19FusedSgdMathFunctorIfLi2EEEJddPfddbbbS7_S7_EEEvT_T0_DpT1_.numbered_sgpr, 38
	.set _ZN2at6native12_GLOBAL__N_125multi_tensor_apply_kernelINS1_18TensorListMetadataILi2EEENS1_19FusedSgdMathFunctorIfLi2EEEJddPfddbbbS7_S7_EEEvT_T0_DpT1_.num_named_barrier, 0
	.set _ZN2at6native12_GLOBAL__N_125multi_tensor_apply_kernelINS1_18TensorListMetadataILi2EEENS1_19FusedSgdMathFunctorIfLi2EEEJddPfddbbbS7_S7_EEEvT_T0_DpT1_.private_seg_size, 0
	.set _ZN2at6native12_GLOBAL__N_125multi_tensor_apply_kernelINS1_18TensorListMetadataILi2EEENS1_19FusedSgdMathFunctorIfLi2EEEJddPfddbbbS7_S7_EEEvT_T0_DpT1_.uses_vcc, 1
	.set _ZN2at6native12_GLOBAL__N_125multi_tensor_apply_kernelINS1_18TensorListMetadataILi2EEENS1_19FusedSgdMathFunctorIfLi2EEEJddPfddbbbS7_S7_EEEvT_T0_DpT1_.uses_flat_scratch, 0
	.set _ZN2at6native12_GLOBAL__N_125multi_tensor_apply_kernelINS1_18TensorListMetadataILi2EEENS1_19FusedSgdMathFunctorIfLi2EEEJddPfddbbbS7_S7_EEEvT_T0_DpT1_.has_dyn_sized_stack, 0
	.set _ZN2at6native12_GLOBAL__N_125multi_tensor_apply_kernelINS1_18TensorListMetadataILi2EEENS1_19FusedSgdMathFunctorIfLi2EEEJddPfddbbbS7_S7_EEEvT_T0_DpT1_.has_recursion, 0
	.set _ZN2at6native12_GLOBAL__N_125multi_tensor_apply_kernelINS1_18TensorListMetadataILi2EEENS1_19FusedSgdMathFunctorIfLi2EEEJddPfddbbbS7_S7_EEEvT_T0_DpT1_.has_indirect_call, 0
	.section	.AMDGPU.csdata,"",@progbits
; Kernel info:
; codeLenInByte = 2628
; TotalNumSgprs: 44
; NumVgprs: 40
; NumAgprs: 0
; TotalNumVgprs: 40
; ScratchSize: 0
; MemoryBound: 0
; FloatMode: 240
; IeeeMode: 1
; LDSByteSize: 0 bytes/workgroup (compile time only)
; SGPRBlocks: 5
; VGPRBlocks: 4
; NumSGPRsForWavesPerEU: 44
; NumVGPRsForWavesPerEU: 40
; AccumOffset: 40
; Occupancy: 8
; WaveLimiterHint : 0
; COMPUTE_PGM_RSRC2:SCRATCH_EN: 0
; COMPUTE_PGM_RSRC2:USER_SGPR: 2
; COMPUTE_PGM_RSRC2:TRAP_HANDLER: 0
; COMPUTE_PGM_RSRC2:TGID_X_EN: 1
; COMPUTE_PGM_RSRC2:TGID_Y_EN: 0
; COMPUTE_PGM_RSRC2:TGID_Z_EN: 0
; COMPUTE_PGM_RSRC2:TIDIG_COMP_CNT: 0
; COMPUTE_PGM_RSRC3_GFX90A:ACCUM_OFFSET: 9
; COMPUTE_PGM_RSRC3_GFX90A:TG_SPLIT: 0
	.section	.text._ZN2at6native12_GLOBAL__N_125multi_tensor_apply_kernelINS1_18TensorListMetadataILi2EEENS1_19FusedSgdMathFunctorIN3c104HalfELi2EEEJddPfddbbbS9_S9_EEEvT_T0_DpT1_,"axG",@progbits,_ZN2at6native12_GLOBAL__N_125multi_tensor_apply_kernelINS1_18TensorListMetadataILi2EEENS1_19FusedSgdMathFunctorIN3c104HalfELi2EEEJddPfddbbbS9_S9_EEEvT_T0_DpT1_,comdat
	.globl	_ZN2at6native12_GLOBAL__N_125multi_tensor_apply_kernelINS1_18TensorListMetadataILi2EEENS1_19FusedSgdMathFunctorIN3c104HalfELi2EEEJddPfddbbbS9_S9_EEEvT_T0_DpT1_ ; -- Begin function _ZN2at6native12_GLOBAL__N_125multi_tensor_apply_kernelINS1_18TensorListMetadataILi2EEENS1_19FusedSgdMathFunctorIN3c104HalfELi2EEEJddPfddbbbS9_S9_EEEvT_T0_DpT1_
	.p2align	8
	.type	_ZN2at6native12_GLOBAL__N_125multi_tensor_apply_kernelINS1_18TensorListMetadataILi2EEENS1_19FusedSgdMathFunctorIN3c104HalfELi2EEEJddPfddbbbS9_S9_EEEvT_T0_DpT1_,@function
_ZN2at6native12_GLOBAL__N_125multi_tensor_apply_kernelINS1_18TensorListMetadataILi2EEENS1_19FusedSgdMathFunctorIN3c104HalfELi2EEEJddPfddbbbS9_S9_EEEvT_T0_DpT1_: ; @_ZN2at6native12_GLOBAL__N_125multi_tensor_apply_kernelINS1_18TensorListMetadataILi2EEENS1_19FusedSgdMathFunctorIN3c104HalfELi2EEEJddPfddbbbS9_S9_EEEvT_T0_DpT1_
; %bb.0:
	s_load_dwordx4 s[16:19], s[0:1], 0xc80
	s_waitcnt lgkmcnt(0)
	s_cmp_eq_u64 s[18:19], 0
	s_cselect_b64 s[4:5], -1, 0
	s_and_b64 vcc, exec, s[4:5]
	s_cbranch_vccnz .LBB6_2
; %bb.1:
	s_load_dword s3, s[18:19], 0x0
	s_waitcnt lgkmcnt(0)
	v_cmp_neq_f32_e64 s[4:5], s3, 1.0
.LBB6_2:
	s_andn2_b64 vcc, exec, s[4:5]
	s_cbranch_vccnz .LBB6_59
; %bb.3:
	v_mov_b32_e32 v1, s2
	global_load_ubyte v1, v1, s[0:1] offset:1536
	s_load_dwordx4 s[4:7], s[0:1], 0xc60
	s_add_u32 s3, s0, s2
	s_mul_hi_u32 s8, s2, 3
	s_mul_i32 s2, s2, 3
	s_addc_u32 s9, s1, 0
	s_add_u32 s2, s3, s2
	s_addc_u32 s3, s9, s8
	s_waitcnt lgkmcnt(0)
	s_cmp_eq_u64 s[4:5], 0
	s_mov_b64 s[8:9], 0
	s_waitcnt vmcnt(0)
	v_readfirstlane_b32 s10, v1
	s_cbranch_scc1 .LBB6_60
; %bb.4:
	s_load_dword s4, s[4:5], 0x0
	s_nop 0
	s_load_dword s2, s[2:3], 0x740
	s_andn2_b64 vcc, exec, s[8:9]
	s_waitcnt lgkmcnt(0)
	v_mov_b32_e32 v24, s4
	s_cbranch_vccnz .LBB6_6
.LBB6_5:
	v_cvt_f32_f64_e32 v24, s[6:7]
.LBB6_6:
	s_load_dword s3, s[0:1], 0xc78
	s_load_dwordx2 s[4:5], s[0:1], 0xc50
	s_waitcnt lgkmcnt(0)
	s_bitcmp1_b32 s3, 8
	s_cselect_b64 s[14:15], -1, 0
	s_and_b32 s6, s10, 0xff
	s_lshl_b32 s12, s6, 3
	s_load_dwordx2 s[8:9], s[0:1], s12 offset:0x400
	s_ashr_i32 s3, s2, 31
	v_cvt_f32_f64_e32 v25, s[4:5]
	s_load_dwordx2 s[4:5], s[0:1], s12 offset:0x0
	s_load_dwordx2 s[6:7], s[0:1], s12 offset:0x200
	s_lshl_b64 s[10:11], s[2:3], 16
	s_waitcnt lgkmcnt(0)
	s_sub_u32 s18, s8, s10
	s_subb_u32 s19, s9, s11
	s_lshl_b64 s[24:25], s[2:3], 17
	s_add_u32 s20, s4, s24
	s_addc_u32 s21, s5, s25
	s_and_b32 s2, s20, 7
	s_mov_b32 s3, 0
	s_add_u32 s22, s6, s24
	s_addc_u32 s23, s7, s25
	s_and_b32 s10, s22, 7
	s_mov_b32 s11, s3
	s_and_b32 s8, s8, 3
	s_mov_b32 s9, s3
	s_or_b64 s[8:9], s[8:9], s[10:11]
	s_or_b64 s[2:3], s[8:9], s[2:3]
	s_cmp_eq_u64 s[2:3], 0
	s_mov_b64 s[2:3], -1
	s_cbranch_scc1 .LBB6_45
; %bb.7:
	v_cmp_lt_i64_e64 s[2:3], s[18:19], 1
	s_and_b64 vcc, exec, s[2:3]
	s_cbranch_vccnz .LBB6_44
; %bb.8:
	s_load_dword s8, s[0:1], 0xc9c
	v_mov_b64_e32 v[2:3], 0x10000
	v_cmp_lt_i64_e32 vcc, s[18:19], v[2:3]
	s_and_b64 s[2:3], vcc, exec
	s_cselect_b32 s27, s19, 0
	s_cselect_b32 s26, s18, 0x10000
	s_waitcnt lgkmcnt(0)
	s_and_b32 s8, s8, 0xffff
	s_lshl_b32 s10, s8, 1
	s_mov_b32 s9, 0
	v_mov_b32_e32 v1, 0
	s_cmp_lg_u64 s[16:17], 0
	s_cselect_b64 s[30:31], -1, 0
	s_lshl_b32 s34, s8, 2
	s_mov_b32 s35, s9
	v_lshlrev_b32_e32 v12, 1, v0
	v_mov_b32_e32 v13, v1
	v_lshl_add_u64 v[18:19], v[0:1], 0, s[8:9]
	s_mov_b32 s11, s9
	s_mul_i32 s12, s8, 3
	s_mov_b32 s13, s9
	v_mad_u64_u32 v[8:9], s[38:39], s8, 6, v[12:13]
	v_lshl_add_u64 v[14:15], s[34:35], 0, v[12:13]
	v_lshlrev_b32_e32 v22, 1, v18
	v_mov_b32_e32 v23, v1
	s_mov_b64 s[28:29], 0
	v_cmp_neq_f32_e64 s[2:3], 0, v25
	v_lshl_add_u64 v[2:3], s[4:5], 0, v[12:13]
	s_lshl_b32 s36, s8, 3
	s_mov_b32 s37, s9
	v_lshl_add_u64 v[4:5], s[6:7], 0, v[12:13]
	v_lshl_add_u64 v[6:7], s[4:5], 0, v[8:9]
	;; [unrolled: 1-line block ×9, first 2 shown]
	s_branch .LBB6_11
.LBB6_9:                                ;   in Loop: Header=BB6_11 Depth=1
	s_or_b64 exec, exec, s[4:5]
.LBB6_10:                               ;   in Loop: Header=BB6_11 Depth=1
	s_add_u32 s28, s28, s34
	s_addc_u32 s29, s29, 0
	v_mov_b64_e32 v[26:27], s[26:27]
	v_cmp_lt_i64_e32 vcc, s[28:29], v[26:27]
	v_lshl_add_u64 v[2:3], v[2:3], 0, s[36:37]
	v_lshl_add_u64 v[4:5], v[4:5], 0, s[36:37]
	;; [unrolled: 1-line block ×8, first 2 shown]
	s_cbranch_vccz .LBB6_44
.LBB6_11:                               ; =>This Inner Loop Header: Depth=1
	v_lshl_add_u64 v[26:27], v[0:1], 0, s[28:29]
	v_cmp_gt_i64_e64 s[4:5], s[26:27], v[26:27]
	v_mov_b32_e32 v26, 0
	v_mov_b32_e32 v27, 0
	;; [unrolled: 1-line block ×3, first 2 shown]
	s_and_saveexec_b64 s[6:7], s[4:5]
	s_cbranch_execz .LBB6_13
; %bb.12:                               ;   in Loop: Header=BB6_11 Depth=1
	v_lshl_add_u64 v[28:29], v[2:3], 0, s[24:25]
	global_load_ushort v30, v[28:29], off
	v_lshl_add_u64 v[28:29], v[4:5], 0, s[24:25]
	global_load_ushort v27, v[28:29], off
	s_waitcnt vmcnt(1)
	v_cvt_f32_f16_e32 v30, v30
.LBB6_13:                               ;   in Loop: Header=BB6_11 Depth=1
	s_or_b64 exec, exec, s[6:7]
	v_lshl_add_u64 v[28:29], v[18:19], 0, s[28:29]
	v_cmp_gt_i64_e64 s[6:7], s[26:27], v[28:29]
	v_mov_b32_e32 v31, 0
	s_and_saveexec_b64 s[8:9], s[6:7]
	s_cbranch_execz .LBB6_15
; %bb.14:                               ;   in Loop: Header=BB6_11 Depth=1
	v_lshl_add_u64 v[28:29], v[20:21], 0, s[24:25]
	global_load_ushort v31, v[28:29], off
	v_lshl_add_u64 v[28:29], v[22:23], 0, s[24:25]
	global_load_ushort v26, v[28:29], off
	s_waitcnt vmcnt(1)
	v_cvt_f32_f16_e32 v31, v31
.LBB6_15:                               ;   in Loop: Header=BB6_11 Depth=1
	s_or_b64 exec, exec, s[8:9]
	v_lshl_add_u64 v[28:29], v[16:17], 0, s[28:29]
	v_cmp_gt_i64_e64 s[8:9], s[26:27], v[28:29]
	v_mov_b32_e32 v32, 0
	v_mov_b32_e32 v28, 0
	;; [unrolled: 1-line block ×3, first 2 shown]
	s_and_saveexec_b64 s[10:11], s[8:9]
	s_cbranch_execz .LBB6_17
; %bb.16:                               ;   in Loop: Header=BB6_11 Depth=1
	v_lshl_add_u64 v[32:33], v[12:13], 0, s[24:25]
	global_load_ushort v34, v[32:33], off
	v_lshl_add_u64 v[32:33], v[14:15], 0, s[24:25]
	global_load_ushort v29, v[32:33], off
	s_waitcnt vmcnt(1)
	v_cvt_f32_f16_e32 v32, v34
.LBB6_17:                               ;   in Loop: Header=BB6_11 Depth=1
	s_or_b64 exec, exec, s[10:11]
	v_lshl_add_u64 v[34:35], v[10:11], 0, s[28:29]
	v_cmp_gt_i64_e64 s[10:11], s[26:27], v[34:35]
	v_mov_b32_e32 v33, 0
	s_and_saveexec_b64 s[12:13], s[10:11]
	s_cbranch_execz .LBB6_19
; %bb.18:                               ;   in Loop: Header=BB6_11 Depth=1
	v_lshl_add_u64 v[34:35], v[6:7], 0, s[24:25]
	global_load_ushort v33, v[34:35], off
	v_lshl_add_u64 v[34:35], v[8:9], 0, s[24:25]
	global_load_ushort v28, v[34:35], off
	s_waitcnt vmcnt(1)
	v_cvt_f32_f16_e32 v33, v33
.LBB6_19:                               ;   in Loop: Header=BB6_11 Depth=1
	s_or_b64 exec, exec, s[12:13]
	s_waitcnt vmcnt(0)
	v_cvt_f32_f16_e32 v34, v27
	v_cndmask_b32_e64 v35, 0, 1, s[30:31]
	v_cmp_ne_u32_e64 s[12:13], 1, v35
	s_andn2_b64 vcc, exec, s[30:31]
	s_cbranch_vccnz .LBB6_21
; %bb.20:                               ;   in Loop: Header=BB6_11 Depth=1
	s_load_dword s33, s[16:17], 0x0
	s_waitcnt lgkmcnt(0)
	v_div_scale_f32 v27, s[38:39], s33, s33, v34
	v_rcp_f32_e32 v35, v27
	v_div_scale_f32 v36, vcc, v34, s33, v34
	v_fma_f32 v37, -v27, v35, 1.0
	v_fmac_f32_e32 v35, v37, v35
	v_mul_f32_e32 v37, v36, v35
	v_fma_f32 v38, -v27, v37, v36
	v_fmac_f32_e32 v37, v38, v35
	v_fma_f32 v27, -v27, v37, v36
	v_div_fmas_f32 v27, v27, v35, v37
	v_div_fixup_f32 v34, v27, s33, v34
	v_cvt_f16_f32_e32 v27, v34
.LBB6_21:                               ;   in Loop: Header=BB6_11 Depth=1
	v_cvt_f32_f16_e32 v35, v26
	s_and_b64 vcc, exec, s[12:13]
	s_cbranch_vccnz .LBB6_23
; %bb.22:                               ;   in Loop: Header=BB6_11 Depth=1
	s_load_dword s33, s[16:17], 0x0
	s_waitcnt lgkmcnt(0)
	v_div_scale_f32 v26, s[38:39], s33, s33, v35
	v_rcp_f32_e32 v36, v26
	v_div_scale_f32 v37, vcc, v35, s33, v35
	v_fma_f32 v38, -v26, v36, 1.0
	v_fmac_f32_e32 v36, v38, v36
	v_mul_f32_e32 v38, v37, v36
	v_fma_f32 v39, -v26, v38, v37
	v_fmac_f32_e32 v38, v39, v36
	v_fma_f32 v26, -v26, v38, v37
	v_div_fmas_f32 v26, v26, v36, v38
	v_div_fixup_f32 v35, v26, s33, v35
	v_cvt_f16_f32_e32 v26, v35
.LBB6_23:                               ;   in Loop: Header=BB6_11 Depth=1
	v_cvt_f32_f16_e32 v36, v29
	s_and_b64 vcc, exec, s[12:13]
	;; [unrolled: 19-line block ×3, first 2 shown]
	s_cbranch_vccnz .LBB6_27
; %bb.26:                               ;   in Loop: Header=BB6_11 Depth=1
	s_load_dword s33, s[16:17], 0x0
	s_waitcnt lgkmcnt(0)
	v_div_scale_f32 v28, s[38:39], s33, s33, v37
	v_rcp_f32_e32 v38, v28
	v_div_scale_f32 v39, vcc, v37, s33, v37
	v_fma_f32 v40, -v28, v38, 1.0
	v_fmac_f32_e32 v38, v40, v38
	v_mul_f32_e32 v40, v39, v38
	v_fma_f32 v41, -v28, v40, v39
	v_fmac_f32_e32 v40, v41, v38
	v_fma_f32 v28, -v28, v40, v39
	v_div_fmas_f32 v28, v28, v38, v40
	v_div_fixup_f32 v37, v28, s33, v37
	v_cvt_f16_f32_e32 v28, v37
.LBB6_27:                               ;   in Loop: Header=BB6_11 Depth=1
	s_and_saveexec_b64 s[38:39], s[4:5]
	s_cbranch_execnz .LBB6_32
; %bb.28:                               ;   in Loop: Header=BB6_11 Depth=1
	s_or_b64 exec, exec, s[38:39]
	s_and_saveexec_b64 s[38:39], s[6:7]
	s_cbranch_execnz .LBB6_33
.LBB6_29:                               ;   in Loop: Header=BB6_11 Depth=1
	s_or_b64 exec, exec, s[38:39]
	s_and_saveexec_b64 s[38:39], s[8:9]
	s_cbranch_execnz .LBB6_34
.LBB6_30:                               ;   in Loop: Header=BB6_11 Depth=1
	s_or_b64 exec, exec, s[38:39]
	s_and_saveexec_b64 s[38:39], s[10:11]
	s_cbranch_execnz .LBB6_35
.LBB6_31:                               ;   in Loop: Header=BB6_11 Depth=1
	s_or_b64 exec, exec, s[38:39]
	s_and_b64 vcc, exec, s[12:13]
	s_cbranch_vccz .LBB6_36
	s_branch .LBB6_10
.LBB6_32:                               ;   in Loop: Header=BB6_11 Depth=1
	v_cndmask_b32_e64 v34, v34, -v34, s[14:15]
	v_fma_f32 v38, v30, v25, v34
	v_cndmask_b32_e64 v34, v34, v38, s[2:3]
	v_fma_mixlo_f16 v30, -v24, v34, v30
	v_lshl_add_u64 v[38:39], v[2:3], 0, s[24:25]
	global_store_short v[38:39], v30, off
	s_or_b64 exec, exec, s[38:39]
	s_and_saveexec_b64 s[38:39], s[6:7]
	s_cbranch_execz .LBB6_29
.LBB6_33:                               ;   in Loop: Header=BB6_11 Depth=1
	v_cndmask_b32_e64 v30, v35, -v35, s[14:15]
	v_fma_f32 v34, v31, v25, v30
	v_cndmask_b32_e64 v30, v30, v34, s[2:3]
	v_fma_mixlo_f16 v34, -v24, v30, v31
	v_lshl_add_u64 v[30:31], v[20:21], 0, s[24:25]
	global_store_short v[30:31], v34, off
	s_or_b64 exec, exec, s[38:39]
	s_and_saveexec_b64 s[38:39], s[8:9]
	s_cbranch_execz .LBB6_30
.LBB6_34:                               ;   in Loop: Header=BB6_11 Depth=1
	v_cndmask_b32_e64 v30, v36, -v36, s[14:15]
	v_fma_f32 v31, v32, v25, v30
	v_cndmask_b32_e64 v30, v30, v31, s[2:3]
	v_fma_mixlo_f16 v32, -v24, v30, v32
	v_lshl_add_u64 v[30:31], v[12:13], 0, s[24:25]
	global_store_short v[30:31], v32, off
	s_or_b64 exec, exec, s[38:39]
	s_and_saveexec_b64 s[38:39], s[10:11]
	s_cbranch_execz .LBB6_31
.LBB6_35:                               ;   in Loop: Header=BB6_11 Depth=1
	v_cndmask_b32_e64 v30, v37, -v37, s[14:15]
	v_fma_f32 v31, v33, v25, v30
	v_cndmask_b32_e64 v30, v30, v31, s[2:3]
	v_fma_mixlo_f16 v32, -v24, v30, v33
	v_lshl_add_u64 v[30:31], v[6:7], 0, s[24:25]
	global_store_short v[30:31], v32, off
	s_or_b64 exec, exec, s[38:39]
	s_and_b64 vcc, exec, s[12:13]
	s_cbranch_vccnz .LBB6_10
.LBB6_36:                               ;   in Loop: Header=BB6_11 Depth=1
	s_and_saveexec_b64 s[12:13], s[4:5]
	s_cbranch_execnz .LBB6_40
; %bb.37:                               ;   in Loop: Header=BB6_11 Depth=1
	s_or_b64 exec, exec, s[12:13]
	s_and_saveexec_b64 s[4:5], s[6:7]
	s_cbranch_execnz .LBB6_41
.LBB6_38:                               ;   in Loop: Header=BB6_11 Depth=1
	s_or_b64 exec, exec, s[4:5]
	s_and_saveexec_b64 s[4:5], s[8:9]
	s_cbranch_execnz .LBB6_42
.LBB6_39:                               ;   in Loop: Header=BB6_11 Depth=1
	s_or_b64 exec, exec, s[4:5]
	s_and_saveexec_b64 s[4:5], s[10:11]
	s_cbranch_execz .LBB6_9
	s_branch .LBB6_43
.LBB6_40:                               ;   in Loop: Header=BB6_11 Depth=1
	v_lshl_add_u64 v[30:31], v[4:5], 0, s[24:25]
	global_store_short v[30:31], v27, off
	s_or_b64 exec, exec, s[12:13]
	s_and_saveexec_b64 s[4:5], s[6:7]
	s_cbranch_execz .LBB6_38
.LBB6_41:                               ;   in Loop: Header=BB6_11 Depth=1
	v_lshl_add_u64 v[30:31], v[22:23], 0, s[24:25]
	global_store_short v[30:31], v26, off
	s_or_b64 exec, exec, s[4:5]
	s_and_saveexec_b64 s[4:5], s[8:9]
	s_cbranch_execz .LBB6_39
.LBB6_42:                               ;   in Loop: Header=BB6_11 Depth=1
	v_lshl_add_u64 v[26:27], v[14:15], 0, s[24:25]
	global_store_short v[26:27], v29, off
	s_or_b64 exec, exec, s[4:5]
	s_and_saveexec_b64 s[4:5], s[10:11]
	s_cbranch_execz .LBB6_9
.LBB6_43:                               ;   in Loop: Header=BB6_11 Depth=1
	v_lshl_add_u64 v[26:27], v[8:9], 0, s[24:25]
	global_store_short v[26:27], v28, off
	s_branch .LBB6_9
.LBB6_44:
	s_mov_b64 s[2:3], 0
.LBB6_45:
	s_andn2_b64 vcc, exec, s[2:3]
	s_cbranch_vccnz .LBB6_59
; %bb.46:
	v_mov_b32_e32 v3, 0
	v_lshlrev_b32_e32 v2, 2, v0
	v_cmp_gt_i64_e32 vcc, s[18:19], v[2:3]
	s_and_saveexec_b64 s[2:3], vcc
	s_cbranch_execz .LBB6_59
; %bb.47:
	s_load_dword s4, s[0:1], 0xc9c
	s_cmp_lg_u64 s[16:17], 0
	s_cselect_b64 s[2:3], -1, 0
	v_cndmask_b32_e64 v4, 0, 1, s[2:3]
	v_mov_b32_e32 v1, v3
	s_waitcnt lgkmcnt(0)
	s_and_b32 s10, s4, 0xffff
	v_add_lshl_u32 v2, v0, s10, 2
	s_mov_b64 s[6:7], 0
	s_mov_b32 s9, 0
	v_cmp_neq_f32_e64 s[0:1], 0, v25
	v_add_u32_e32 v12, s10, v0
	s_lshl_b32 s8, s10, 2
	v_cmp_ne_u32_e64 s[2:3], 1, v4
	s_mov_b32 s11, 0x5040100
	s_movk_i32 s12, 0x3fff
	v_mov_b64_e32 v[4:5], v[2:3]
	v_mov_b32_e32 v2, v0
	s_branch .LBB6_49
.LBB6_48:                               ;   in Loop: Header=BB6_49 Depth=1
	v_cmp_le_u64_e32 vcc, s[18:19], v[4:5]
	v_cmp_lt_u32_e64 s[4:5], s12, v12
	s_or_b64 s[4:5], vcc, s[4:5]
	v_add_u32_e32 v2, s10, v2
	s_and_b64 s[4:5], exec, s[4:5]
	v_add_u32_e32 v12, s10, v12
	v_lshl_add_u64 v[4:5], v[4:5], 0, s[8:9]
	s_or_b64 s[6:7], s[4:5], s[6:7]
	v_mov_b64_e32 v[0:1], v[2:3]
	s_andn2_b64 exec, exec, s[6:7]
	s_cbranch_execz .LBB6_59
.LBB6_49:                               ; =>This Inner Loop Header: Depth=1
	v_lshlrev_b64 v[6:7], 3, v[0:1]
	v_lshl_add_u64 v[0:1], s[22:23], 0, v[6:7]
	global_load_dwordx2 v[10:11], v[0:1], off
	v_lshl_add_u64 v[6:7], s[20:21], 0, v[6:7]
	global_load_dwordx2 v[8:9], v[6:7], off
	s_and_b64 vcc, exec, s[2:3]
	s_waitcnt vmcnt(1)
	v_cvt_f32_f16_e32 v13, v10
	s_cbranch_vccnz .LBB6_57
; %bb.50:                               ;   in Loop: Header=BB6_49 Depth=1
	global_load_dword v14, v3, s[16:17]
	s_waitcnt vmcnt(0)
	v_div_scale_f32 v15, s[4:5], v14, v14, v13
	v_rcp_f32_e32 v16, v15
	v_div_scale_f32 v17, vcc, v13, v14, v13
	v_fma_f32 v18, -v15, v16, 1.0
	v_fmac_f32_e32 v16, v18, v16
	v_mul_f32_e32 v18, v17, v16
	v_fma_f32 v19, -v15, v18, v17
	v_fmac_f32_e32 v18, v19, v16
	v_fma_f32 v15, -v15, v18, v17
	v_div_fmas_f32 v15, v15, v16, v18
	v_div_fixup_f32 v13, v15, v14, v13
	v_cvt_f16_f32_e32 v14, v13
	v_lshrrev_b32_e32 v10, 16, v10
	v_cvt_f32_f16_e32 v15, v10
	s_and_b64 vcc, exec, s[2:3]
	s_cbranch_vccnz .LBB6_52
.LBB6_51:                               ;   in Loop: Header=BB6_49 Depth=1
	global_load_dword v10, v3, s[16:17]
	s_waitcnt vmcnt(0)
	v_div_scale_f32 v16, s[4:5], v10, v10, v15
	v_rcp_f32_e32 v17, v16
	v_div_scale_f32 v18, vcc, v15, v10, v15
	v_fma_f32 v19, -v16, v17, 1.0
	v_fmac_f32_e32 v17, v19, v17
	v_mul_f32_e32 v19, v18, v17
	v_fma_f32 v20, -v16, v19, v18
	v_fmac_f32_e32 v19, v20, v17
	v_fma_f32 v16, -v16, v19, v18
	v_div_fmas_f32 v16, v16, v17, v19
	v_div_fixup_f32 v15, v16, v10, v15
	v_cvt_f16_f32_e32 v10, v15
.LBB6_52:                               ;   in Loop: Header=BB6_49 Depth=1
	v_cvt_f32_f16_e32 v17, v11
	s_and_b64 vcc, exec, s[2:3]
	s_cbranch_vccnz .LBB6_58
; %bb.53:                               ;   in Loop: Header=BB6_49 Depth=1
	global_load_dword v16, v3, s[16:17]
	s_waitcnt vmcnt(0)
	v_div_scale_f32 v18, s[4:5], v16, v16, v17
	v_rcp_f32_e32 v19, v18
	v_div_scale_f32 v20, vcc, v17, v16, v17
	v_fma_f32 v21, -v18, v19, 1.0
	v_fmac_f32_e32 v19, v21, v19
	v_mul_f32_e32 v21, v20, v19
	v_fma_f32 v22, -v18, v21, v20
	v_fmac_f32_e32 v21, v22, v19
	v_fma_f32 v18, -v18, v21, v20
	v_div_fmas_f32 v18, v18, v19, v21
	v_div_fixup_f32 v17, v18, v16, v17
	v_cvt_f16_f32_e32 v16, v17
	v_lshrrev_b32_e32 v18, 16, v11
	v_cvt_f32_f16_e32 v11, v18
	s_and_b64 vcc, exec, s[2:3]
	s_cbranch_vccnz .LBB6_55
.LBB6_54:                               ;   in Loop: Header=BB6_49 Depth=1
	global_load_dword v18, v3, s[16:17]
	s_waitcnt vmcnt(0)
	v_div_scale_f32 v19, s[4:5], v18, v18, v11
	v_rcp_f32_e32 v20, v19
	v_div_scale_f32 v21, vcc, v11, v18, v11
	v_fma_f32 v22, -v19, v20, 1.0
	v_fmac_f32_e32 v20, v22, v20
	v_mul_f32_e32 v22, v21, v20
	v_fma_f32 v23, -v19, v22, v21
	v_fmac_f32_e32 v22, v23, v20
	v_fma_f32 v19, -v19, v22, v21
	v_div_fmas_f32 v19, v19, v20, v22
	v_div_fixup_f32 v11, v19, v18, v11
	v_cvt_f16_f32_e32 v18, v11
.LBB6_55:                               ;   in Loop: Header=BB6_49 Depth=1
	v_cndmask_b32_e64 v17, v17, -v17, s[14:15]
	s_waitcnt vmcnt(0)
	v_fma_mix_f32 v19, v25, v9, v17 op_sel_hi:[0,1,0]
	v_cndmask_b32_e64 v17, v17, v19, s[0:1]
	v_cndmask_b32_e64 v15, v15, -v15, s[14:15]
	v_fma_mixlo_f16 v21, -v24, v17, v9 op_sel_hi:[0,0,1]
	v_fma_mix_f32 v17, v25, v8, v15 op_sel:[0,1,0] op_sel_hi:[0,1,0]
	v_cndmask_b32_e64 v13, v13, -v13, s[14:15]
	v_cndmask_b32_e64 v15, v15, v17, s[0:1]
	v_fma_mix_f32 v17, v25, v8, v13 op_sel_hi:[0,1,0]
	v_cndmask_b32_e64 v13, v13, v17, s[0:1]
	v_cndmask_b32_e64 v11, v11, -v11, s[14:15]
	v_fma_mixlo_f16 v20, -v24, v13, v8 op_sel_hi:[0,0,1]
	v_fma_mix_f32 v13, v25, v9, v11 op_sel:[0,1,0] op_sel_hi:[0,1,0]
	v_cndmask_b32_e64 v11, v11, v13, s[0:1]
	v_fma_mixhi_f16 v21, -v24, v11, v9 op_sel:[0,0,1] op_sel_hi:[0,0,1]
	v_fma_mixhi_f16 v20, -v24, v15, v8 op_sel:[0,0,1] op_sel_hi:[0,0,1]
	s_and_b64 vcc, exec, s[2:3]
	global_store_dwordx2 v[6:7], v[20:21], off
	s_cbranch_vccnz .LBB6_48
; %bb.56:                               ;   in Loop: Header=BB6_49 Depth=1
	v_perm_b32 v7, v18, v16, s11
	v_perm_b32 v6, v10, v14, s11
	global_store_dwordx2 v[0:1], v[6:7], off
	s_branch .LBB6_48
.LBB6_57:                               ;   in Loop: Header=BB6_49 Depth=1
	v_mov_b32_e32 v14, v10
	v_lshrrev_b32_e32 v10, 16, v10
	v_cvt_f32_f16_e32 v15, v10
	s_and_b64 vcc, exec, s[2:3]
	s_cbranch_vccz .LBB6_51
	s_branch .LBB6_52
.LBB6_58:                               ;   in Loop: Header=BB6_49 Depth=1
	v_mov_b32_e32 v16, v11
	v_lshrrev_b32_e32 v18, 16, v11
	v_cvt_f32_f16_e32 v11, v18
	s_and_b64 vcc, exec, s[2:3]
	s_cbranch_vccz .LBB6_54
	s_branch .LBB6_55
.LBB6_59:
	s_endpgm
.LBB6_60:
                                        ; implicit-def: $sgpr4
	s_load_dword s2, s[2:3], 0x740
	v_mov_b32_e32 v24, s4
	s_branch .LBB6_5
	.section	.rodata,"a",@progbits
	.p2align	6, 0x0
	.amdhsa_kernel _ZN2at6native12_GLOBAL__N_125multi_tensor_apply_kernelINS1_18TensorListMetadataILi2EEENS1_19FusedSgdMathFunctorIN3c104HalfELi2EEEJddPfddbbbS9_S9_EEEvT_T0_DpT1_
		.amdhsa_group_segment_fixed_size 0
		.amdhsa_private_segment_fixed_size 0
		.amdhsa_kernarg_size 3472
		.amdhsa_user_sgpr_count 2
		.amdhsa_user_sgpr_dispatch_ptr 0
		.amdhsa_user_sgpr_queue_ptr 0
		.amdhsa_user_sgpr_kernarg_segment_ptr 1
		.amdhsa_user_sgpr_dispatch_id 0
		.amdhsa_user_sgpr_kernarg_preload_length 0
		.amdhsa_user_sgpr_kernarg_preload_offset 0
		.amdhsa_user_sgpr_private_segment_size 0
		.amdhsa_uses_dynamic_stack 0
		.amdhsa_enable_private_segment 0
		.amdhsa_system_sgpr_workgroup_id_x 1
		.amdhsa_system_sgpr_workgroup_id_y 0
		.amdhsa_system_sgpr_workgroup_id_z 0
		.amdhsa_system_sgpr_workgroup_info 0
		.amdhsa_system_vgpr_workitem_id 0
		.amdhsa_next_free_vgpr 42
		.amdhsa_next_free_sgpr 40
		.amdhsa_accum_offset 44
		.amdhsa_reserve_vcc 1
		.amdhsa_float_round_mode_32 0
		.amdhsa_float_round_mode_16_64 0
		.amdhsa_float_denorm_mode_32 3
		.amdhsa_float_denorm_mode_16_64 3
		.amdhsa_dx10_clamp 1
		.amdhsa_ieee_mode 1
		.amdhsa_fp16_overflow 0
		.amdhsa_tg_split 0
		.amdhsa_exception_fp_ieee_invalid_op 0
		.amdhsa_exception_fp_denorm_src 0
		.amdhsa_exception_fp_ieee_div_zero 0
		.amdhsa_exception_fp_ieee_overflow 0
		.amdhsa_exception_fp_ieee_underflow 0
		.amdhsa_exception_fp_ieee_inexact 0
		.amdhsa_exception_int_div_zero 0
	.end_amdhsa_kernel
	.section	.text._ZN2at6native12_GLOBAL__N_125multi_tensor_apply_kernelINS1_18TensorListMetadataILi2EEENS1_19FusedSgdMathFunctorIN3c104HalfELi2EEEJddPfddbbbS9_S9_EEEvT_T0_DpT1_,"axG",@progbits,_ZN2at6native12_GLOBAL__N_125multi_tensor_apply_kernelINS1_18TensorListMetadataILi2EEENS1_19FusedSgdMathFunctorIN3c104HalfELi2EEEJddPfddbbbS9_S9_EEEvT_T0_DpT1_,comdat
.Lfunc_end6:
	.size	_ZN2at6native12_GLOBAL__N_125multi_tensor_apply_kernelINS1_18TensorListMetadataILi2EEENS1_19FusedSgdMathFunctorIN3c104HalfELi2EEEJddPfddbbbS9_S9_EEEvT_T0_DpT1_, .Lfunc_end6-_ZN2at6native12_GLOBAL__N_125multi_tensor_apply_kernelINS1_18TensorListMetadataILi2EEENS1_19FusedSgdMathFunctorIN3c104HalfELi2EEEJddPfddbbbS9_S9_EEEvT_T0_DpT1_
                                        ; -- End function
	.set _ZN2at6native12_GLOBAL__N_125multi_tensor_apply_kernelINS1_18TensorListMetadataILi2EEENS1_19FusedSgdMathFunctorIN3c104HalfELi2EEEJddPfddbbbS9_S9_EEEvT_T0_DpT1_.num_vgpr, 42
	.set _ZN2at6native12_GLOBAL__N_125multi_tensor_apply_kernelINS1_18TensorListMetadataILi2EEENS1_19FusedSgdMathFunctorIN3c104HalfELi2EEEJddPfddbbbS9_S9_EEEvT_T0_DpT1_.num_agpr, 0
	.set _ZN2at6native12_GLOBAL__N_125multi_tensor_apply_kernelINS1_18TensorListMetadataILi2EEENS1_19FusedSgdMathFunctorIN3c104HalfELi2EEEJddPfddbbbS9_S9_EEEvT_T0_DpT1_.numbered_sgpr, 40
	.set _ZN2at6native12_GLOBAL__N_125multi_tensor_apply_kernelINS1_18TensorListMetadataILi2EEENS1_19FusedSgdMathFunctorIN3c104HalfELi2EEEJddPfddbbbS9_S9_EEEvT_T0_DpT1_.num_named_barrier, 0
	.set _ZN2at6native12_GLOBAL__N_125multi_tensor_apply_kernelINS1_18TensorListMetadataILi2EEENS1_19FusedSgdMathFunctorIN3c104HalfELi2EEEJddPfddbbbS9_S9_EEEvT_T0_DpT1_.private_seg_size, 0
	.set _ZN2at6native12_GLOBAL__N_125multi_tensor_apply_kernelINS1_18TensorListMetadataILi2EEENS1_19FusedSgdMathFunctorIN3c104HalfELi2EEEJddPfddbbbS9_S9_EEEvT_T0_DpT1_.uses_vcc, 1
	.set _ZN2at6native12_GLOBAL__N_125multi_tensor_apply_kernelINS1_18TensorListMetadataILi2EEENS1_19FusedSgdMathFunctorIN3c104HalfELi2EEEJddPfddbbbS9_S9_EEEvT_T0_DpT1_.uses_flat_scratch, 0
	.set _ZN2at6native12_GLOBAL__N_125multi_tensor_apply_kernelINS1_18TensorListMetadataILi2EEENS1_19FusedSgdMathFunctorIN3c104HalfELi2EEEJddPfddbbbS9_S9_EEEvT_T0_DpT1_.has_dyn_sized_stack, 0
	.set _ZN2at6native12_GLOBAL__N_125multi_tensor_apply_kernelINS1_18TensorListMetadataILi2EEENS1_19FusedSgdMathFunctorIN3c104HalfELi2EEEJddPfddbbbS9_S9_EEEvT_T0_DpT1_.has_recursion, 0
	.set _ZN2at6native12_GLOBAL__N_125multi_tensor_apply_kernelINS1_18TensorListMetadataILi2EEENS1_19FusedSgdMathFunctorIN3c104HalfELi2EEEJddPfddbbbS9_S9_EEEvT_T0_DpT1_.has_indirect_call, 0
	.section	.AMDGPU.csdata,"",@progbits
; Kernel info:
; codeLenInByte = 2712
; TotalNumSgprs: 46
; NumVgprs: 42
; NumAgprs: 0
; TotalNumVgprs: 42
; ScratchSize: 0
; MemoryBound: 0
; FloatMode: 240
; IeeeMode: 1
; LDSByteSize: 0 bytes/workgroup (compile time only)
; SGPRBlocks: 5
; VGPRBlocks: 5
; NumSGPRsForWavesPerEU: 46
; NumVGPRsForWavesPerEU: 42
; AccumOffset: 44
; Occupancy: 8
; WaveLimiterHint : 0
; COMPUTE_PGM_RSRC2:SCRATCH_EN: 0
; COMPUTE_PGM_RSRC2:USER_SGPR: 2
; COMPUTE_PGM_RSRC2:TRAP_HANDLER: 0
; COMPUTE_PGM_RSRC2:TGID_X_EN: 1
; COMPUTE_PGM_RSRC2:TGID_Y_EN: 0
; COMPUTE_PGM_RSRC2:TGID_Z_EN: 0
; COMPUTE_PGM_RSRC2:TIDIG_COMP_CNT: 0
; COMPUTE_PGM_RSRC3_GFX90A:ACCUM_OFFSET: 10
; COMPUTE_PGM_RSRC3_GFX90A:TG_SPLIT: 0
	.section	.text._ZN2at6native12_GLOBAL__N_125multi_tensor_apply_kernelINS1_18TensorListMetadataILi2EEENS1_19FusedSgdMathFunctorIN3c108BFloat16ELi2EEEJddPfddbbbS9_S9_EEEvT_T0_DpT1_,"axG",@progbits,_ZN2at6native12_GLOBAL__N_125multi_tensor_apply_kernelINS1_18TensorListMetadataILi2EEENS1_19FusedSgdMathFunctorIN3c108BFloat16ELi2EEEJddPfddbbbS9_S9_EEEvT_T0_DpT1_,comdat
	.globl	_ZN2at6native12_GLOBAL__N_125multi_tensor_apply_kernelINS1_18TensorListMetadataILi2EEENS1_19FusedSgdMathFunctorIN3c108BFloat16ELi2EEEJddPfddbbbS9_S9_EEEvT_T0_DpT1_ ; -- Begin function _ZN2at6native12_GLOBAL__N_125multi_tensor_apply_kernelINS1_18TensorListMetadataILi2EEENS1_19FusedSgdMathFunctorIN3c108BFloat16ELi2EEEJddPfddbbbS9_S9_EEEvT_T0_DpT1_
	.p2align	8
	.type	_ZN2at6native12_GLOBAL__N_125multi_tensor_apply_kernelINS1_18TensorListMetadataILi2EEENS1_19FusedSgdMathFunctorIN3c108BFloat16ELi2EEEJddPfddbbbS9_S9_EEEvT_T0_DpT1_,@function
_ZN2at6native12_GLOBAL__N_125multi_tensor_apply_kernelINS1_18TensorListMetadataILi2EEENS1_19FusedSgdMathFunctorIN3c108BFloat16ELi2EEEJddPfddbbbS9_S9_EEEvT_T0_DpT1_: ; @_ZN2at6native12_GLOBAL__N_125multi_tensor_apply_kernelINS1_18TensorListMetadataILi2EEENS1_19FusedSgdMathFunctorIN3c108BFloat16ELi2EEEJddPfddbbbS9_S9_EEEvT_T0_DpT1_
; %bb.0:
	s_load_dwordx4 s[16:19], s[0:1], 0xc80
	s_waitcnt lgkmcnt(0)
	s_cmp_eq_u64 s[18:19], 0
	s_cselect_b64 s[4:5], -1, 0
	s_and_b64 vcc, exec, s[4:5]
	s_cbranch_vccnz .LBB7_2
; %bb.1:
	s_load_dword s3, s[18:19], 0x0
	s_waitcnt lgkmcnt(0)
	v_cmp_neq_f32_e64 s[4:5], s3, 1.0
.LBB7_2:
	s_andn2_b64 vcc, exec, s[4:5]
	s_cbranch_vccnz .LBB7_59
; %bb.3:
	v_mov_b32_e32 v1, s2
	global_load_ubyte v1, v1, s[0:1] offset:1536
	s_load_dwordx4 s[4:7], s[0:1], 0xc60
	s_add_u32 s3, s0, s2
	s_mul_hi_u32 s8, s2, 3
	s_mul_i32 s2, s2, 3
	s_addc_u32 s9, s1, 0
	s_add_u32 s2, s3, s2
	s_addc_u32 s3, s9, s8
	s_waitcnt lgkmcnt(0)
	s_cmp_eq_u64 s[4:5], 0
	s_mov_b64 s[8:9], 0
	s_waitcnt vmcnt(0)
	v_readfirstlane_b32 s10, v1
	s_cbranch_scc1 .LBB7_60
; %bb.4:
	s_load_dword s4, s[4:5], 0x0
	s_nop 0
	s_load_dword s2, s[2:3], 0x740
	s_andn2_b64 vcc, exec, s[8:9]
	s_waitcnt lgkmcnt(0)
	v_mov_b32_e32 v12, s4
	s_cbranch_vccnz .LBB7_6
.LBB7_5:
	v_cvt_f32_f64_e32 v12, s[6:7]
.LBB7_6:
	s_load_dword s3, s[0:1], 0xc78
	s_load_dwordx2 s[4:5], s[0:1], 0xc50
	s_waitcnt lgkmcnt(0)
	s_bitcmp1_b32 s3, 8
	s_cselect_b64 s[14:15], -1, 0
	s_and_b32 s6, s10, 0xff
	s_lshl_b32 s12, s6, 3
	s_load_dwordx2 s[6:7], s[0:1], s12 offset:0x400
	s_ashr_i32 s3, s2, 31
	v_cvt_f32_f64_e32 v13, s[4:5]
	s_load_dwordx2 s[4:5], s[0:1], s12 offset:0x0
	s_load_dwordx2 s[10:11], s[0:1], s12 offset:0x200
	s_lshl_b64 s[8:9], s[2:3], 16
	s_waitcnt lgkmcnt(0)
	s_sub_u32 s18, s6, s8
	s_subb_u32 s19, s7, s9
	s_lshl_b64 s[2:3], s[2:3], 17
	s_add_u32 s20, s4, s2
	s_addc_u32 s21, s5, s3
	s_and_b32 s4, s20, 7
	s_mov_b32 s5, 0
	s_add_u32 s22, s10, s2
	s_addc_u32 s23, s11, s3
	s_and_b32 s2, s22, 7
	s_mov_b32 s3, s5
	s_and_b32 s6, s6, 3
	s_mov_b32 s7, s5
	s_or_b64 s[2:3], s[6:7], s[2:3]
	s_or_b64 s[2:3], s[2:3], s[4:5]
	s_cmp_eq_u64 s[2:3], 0
	s_mov_b64 s[2:3], -1
	s_cbranch_scc1 .LBB7_45
; %bb.7:
	v_cmp_lt_i64_e64 s[2:3], s[18:19], 1
	s_and_b64 vcc, exec, s[2:3]
	s_cbranch_vccnz .LBB7_44
; %bb.8:
	s_load_dword s4, s[0:1], 0xc9c
	v_mov_b64_e32 v[2:3], 0x10000
	v_cmp_lt_i64_e32 vcc, s[18:19], v[2:3]
	s_and_b64 s[2:3], vcc, exec
	s_cselect_b32 s27, s19, 0
	s_cselect_b32 s26, s18, 0x10000
	s_waitcnt lgkmcnt(0)
	s_and_b32 s28, s4, 0xffff
	v_cmp_lt_u64_e32 vcc, s[18:19], v[2:3]
	s_and_b64 s[2:3], vcc, exec
	s_cselect_b32 s31, s19, 0
	s_cselect_b32 s30, s18, 0x10000
	s_lshl_b32 s34, s28, 1
	s_cmp_lg_u64 s[16:17], 0
	s_cselect_b64 s[4:5], -1, 0
	s_mov_b32 s25, 0
	v_cndmask_b32_e64 v1, 0, 1, s[4:5]
	s_mov_b32 s29, s25
	s_mov_b32 s35, s25
	s_mul_i32 s36, s28, 3
	s_mov_b32 s37, s25
	s_mov_b64 s[38:39], 0
	v_cmp_neq_f32_e64 s[2:3], 0, v13
	s_lshl_b32 s33, s28, 2
	v_mov_b32_e32 v3, 0
	v_cmp_ne_u32_e64 s[4:5], 1, v1
	s_movk_i32 s42, 0x7fff
	v_mov_b32_e32 v1, 0x7fc0
	s_branch .LBB7_11
.LBB7_9:                                ;   in Loop: Header=BB7_11 Depth=1
	s_or_b64 exec, exec, s[6:7]
.LBB7_10:                               ;   in Loop: Header=BB7_11 Depth=1
	s_add_i32 s24, s33, s38
	v_mov_b64_e32 v[4:5], s[24:25]
	v_cmp_gt_i64_e32 vcc, s[26:27], v[4:5]
	s_mov_b64 s[38:39], s[24:25]
	s_cbranch_vccz .LBB7_44
.LBB7_11:                               ; =>This Inner Loop Header: Depth=1
	v_add_u32_e32 v2, s38, v0
	v_cmp_gt_u64_e64 s[6:7], s[30:31], v[2:3]
	v_mov_b32_e32 v10, v3
	v_mov_b32_e32 v16, v3
	s_and_saveexec_b64 s[8:9], s[6:7]
	s_cbranch_execz .LBB7_13
; %bb.12:                               ;   in Loop: Header=BB7_11 Depth=1
	v_lshlrev_b64 v[4:5], 1, v[2:3]
	v_lshl_add_u64 v[6:7], s[20:21], 0, v[4:5]
	v_lshl_add_u64 v[4:5], s[22:23], 0, v[4:5]
	global_load_ushort v8, v[6:7], off
	global_load_ushort v10, v[4:5], off
	s_waitcnt vmcnt(1)
	v_lshlrev_b32_e32 v16, 16, v8
.LBB7_13:                               ;   in Loop: Header=BB7_11 Depth=1
	s_or_b64 exec, exec, s[8:9]
	v_lshl_add_u64 v[4:5], v[2:3], 0, s[28:29]
	v_cmp_gt_u64_e64 s[8:9], s[30:31], v[4:5]
	v_mov_b32_e32 v17, 0
	v_mov_b32_e32 v11, 0
	;; [unrolled: 1-line block ×3, first 2 shown]
	s_and_saveexec_b64 s[10:11], s[8:9]
	s_cbranch_execz .LBB7_15
; %bb.14:                               ;   in Loop: Header=BB7_11 Depth=1
	v_lshlrev_b64 v[6:7], 1, v[4:5]
	v_lshl_add_u64 v[8:9], s[20:21], 0, v[6:7]
	v_lshl_add_u64 v[6:7], s[22:23], 0, v[6:7]
	global_load_ushort v15, v[8:9], off
	global_load_ushort v14, v[6:7], off
	s_waitcnt vmcnt(1)
	v_lshlrev_b32_e32 v17, 16, v15
.LBB7_15:                               ;   in Loop: Header=BB7_11 Depth=1
	s_or_b64 exec, exec, s[10:11]
	v_lshl_add_u64 v[6:7], v[2:3], 0, s[34:35]
	v_cmp_gt_u64_e64 s[10:11], s[30:31], v[6:7]
	v_mov_b32_e32 v18, 0
	s_and_saveexec_b64 s[12:13], s[10:11]
	s_cbranch_execz .LBB7_17
; %bb.16:                               ;   in Loop: Header=BB7_11 Depth=1
	v_lshlrev_b64 v[8:9], 1, v[6:7]
	v_lshl_add_u64 v[18:19], s[20:21], 0, v[8:9]
	v_lshl_add_u64 v[8:9], s[22:23], 0, v[8:9]
	global_load_ushort v15, v[18:19], off
	global_load_ushort v11, v[8:9], off
	s_waitcnt vmcnt(1)
	v_lshlrev_b32_e32 v18, 16, v15
.LBB7_17:                               ;   in Loop: Header=BB7_11 Depth=1
	s_or_b64 exec, exec, s[12:13]
	v_lshl_add_u64 v[8:9], v[2:3], 0, s[36:37]
	v_cmp_gt_u64_e64 s[12:13], s[30:31], v[8:9]
	v_mov_b32_e32 v19, 0
	v_mov_b32_e32 v15, 0
	s_and_saveexec_b64 s[40:41], s[12:13]
	s_cbranch_execz .LBB7_19
; %bb.18:                               ;   in Loop: Header=BB7_11 Depth=1
	v_lshlrev_b64 v[20:21], 1, v[8:9]
	v_lshl_add_u64 v[22:23], s[20:21], 0, v[20:21]
	v_lshl_add_u64 v[20:21], s[22:23], 0, v[20:21]
	global_load_ushort v19, v[22:23], off
	global_load_ushort v15, v[20:21], off
	s_waitcnt vmcnt(1)
	v_lshlrev_b32_e32 v19, 16, v19
.LBB7_19:                               ;   in Loop: Header=BB7_11 Depth=1
	s_or_b64 exec, exec, s[40:41]
	s_and_b64 vcc, exec, s[4:5]
	s_waitcnt vmcnt(0)
	v_lshlrev_b32_e32 v20, 16, v10
	s_cbranch_vccnz .LBB7_21
; %bb.20:                               ;   in Loop: Header=BB7_11 Depth=1
	s_load_dword s24, s[16:17], 0x0
	s_waitcnt lgkmcnt(0)
	v_div_scale_f32 v10, s[40:41], s24, s24, v20
	v_rcp_f32_e32 v21, v10
	v_div_scale_f32 v22, vcc, v20, s24, v20
	v_fma_f32 v23, -v10, v21, 1.0
	v_fmac_f32_e32 v21, v23, v21
	v_mul_f32_e32 v23, v22, v21
	v_fma_f32 v24, -v10, v23, v22
	v_fmac_f32_e32 v23, v24, v21
	v_fma_f32 v10, -v10, v23, v22
	v_div_fmas_f32 v10, v10, v21, v23
	v_div_fixup_f32 v20, v10, s24, v20
	v_bfe_u32 v10, v20, 16, 1
	v_cmp_o_f32_e32 vcc, v20, v20
	v_add3_u32 v10, v20, v10, s42
	s_nop 0
	v_cndmask_b32_sdwa v10, v1, v10, vcc dst_sel:DWORD dst_unused:UNUSED_PAD src0_sel:DWORD src1_sel:WORD_1
.LBB7_21:                               ;   in Loop: Header=BB7_11 Depth=1
	s_and_b64 vcc, exec, s[4:5]
	v_lshlrev_b32_e32 v21, 16, v14
	s_cbranch_vccnz .LBB7_23
; %bb.22:                               ;   in Loop: Header=BB7_11 Depth=1
	s_load_dword s24, s[16:17], 0x0
	s_waitcnt lgkmcnt(0)
	v_div_scale_f32 v14, s[40:41], s24, s24, v21
	v_rcp_f32_e32 v22, v14
	v_div_scale_f32 v23, vcc, v21, s24, v21
	v_fma_f32 v24, -v14, v22, 1.0
	v_fmac_f32_e32 v22, v24, v22
	v_mul_f32_e32 v24, v23, v22
	v_fma_f32 v25, -v14, v24, v23
	v_fmac_f32_e32 v24, v25, v22
	v_fma_f32 v14, -v14, v24, v23
	v_div_fmas_f32 v14, v14, v22, v24
	v_div_fixup_f32 v21, v14, s24, v21
	v_bfe_u32 v14, v21, 16, 1
	v_cmp_o_f32_e32 vcc, v21, v21
	v_add3_u32 v14, v21, v14, s42
	s_nop 0
	v_cndmask_b32_sdwa v14, v1, v14, vcc dst_sel:DWORD dst_unused:UNUSED_PAD src0_sel:DWORD src1_sel:WORD_1
.LBB7_23:                               ;   in Loop: Header=BB7_11 Depth=1
	s_and_b64 vcc, exec, s[4:5]
	;; [unrolled: 23-line block ×3, first 2 shown]
	v_lshlrev_b32_e32 v23, 16, v15
	s_cbranch_vccnz .LBB7_27
; %bb.26:                               ;   in Loop: Header=BB7_11 Depth=1
	s_load_dword s24, s[16:17], 0x0
	s_waitcnt lgkmcnt(0)
	v_div_scale_f32 v15, s[40:41], s24, s24, v23
	v_rcp_f32_e32 v24, v15
	v_div_scale_f32 v25, vcc, v23, s24, v23
	v_fma_f32 v26, -v15, v24, 1.0
	v_fmac_f32_e32 v24, v26, v24
	v_mul_f32_e32 v26, v25, v24
	v_fma_f32 v27, -v15, v26, v25
	v_fmac_f32_e32 v26, v27, v24
	v_fma_f32 v15, -v15, v26, v25
	v_div_fmas_f32 v15, v15, v24, v26
	v_div_fixup_f32 v23, v15, s24, v23
	v_bfe_u32 v15, v23, 16, 1
	v_cmp_o_f32_e32 vcc, v23, v23
	v_add3_u32 v15, v23, v15, s42
	s_nop 0
	v_cndmask_b32_sdwa v15, v1, v15, vcc dst_sel:DWORD dst_unused:UNUSED_PAD src0_sel:DWORD src1_sel:WORD_1
.LBB7_27:                               ;   in Loop: Header=BB7_11 Depth=1
	s_and_saveexec_b64 s[40:41], s[6:7]
	s_cbranch_execnz .LBB7_32
; %bb.28:                               ;   in Loop: Header=BB7_11 Depth=1
	s_or_b64 exec, exec, s[40:41]
	s_and_saveexec_b64 s[40:41], s[8:9]
	s_cbranch_execnz .LBB7_33
.LBB7_29:                               ;   in Loop: Header=BB7_11 Depth=1
	s_or_b64 exec, exec, s[40:41]
	s_and_saveexec_b64 s[40:41], s[10:11]
	s_cbranch_execnz .LBB7_34
.LBB7_30:                               ;   in Loop: Header=BB7_11 Depth=1
	s_or_b64 exec, exec, s[40:41]
	s_and_saveexec_b64 s[40:41], s[12:13]
	s_cbranch_execnz .LBB7_35
.LBB7_31:                               ;   in Loop: Header=BB7_11 Depth=1
	s_or_b64 exec, exec, s[40:41]
	s_and_b64 vcc, exec, s[4:5]
	s_cbranch_vccz .LBB7_36
	s_branch .LBB7_10
.LBB7_32:                               ;   in Loop: Header=BB7_11 Depth=1
	v_cndmask_b32_e64 v20, v20, -v20, s[14:15]
	v_fma_f32 v24, v16, v13, v20
	v_cndmask_b32_e64 v20, v20, v24, s[2:3]
	v_fma_f32 v16, -v12, v20, v16
	v_bfe_u32 v20, v16, 16, 1
	v_add3_u32 v20, v16, v20, s42
	v_cmp_o_f32_e32 vcc, v16, v16
	v_lshl_add_u64 v[24:25], v[2:3], 1, s[20:21]
	s_nop 0
	v_cndmask_b32_sdwa v16, v1, v20, vcc dst_sel:DWORD dst_unused:UNUSED_PAD src0_sel:DWORD src1_sel:WORD_1
	global_store_short v[24:25], v16, off
	s_or_b64 exec, exec, s[40:41]
	s_and_saveexec_b64 s[40:41], s[8:9]
	s_cbranch_execz .LBB7_29
.LBB7_33:                               ;   in Loop: Header=BB7_11 Depth=1
	v_cndmask_b32_e64 v16, v21, -v21, s[14:15]
	v_fma_f32 v20, v17, v13, v16
	v_cndmask_b32_e64 v16, v16, v20, s[2:3]
	v_fma_f32 v16, -v12, v16, v17
	v_bfe_u32 v17, v16, 16, 1
	v_add3_u32 v17, v16, v17, s42
	v_cmp_o_f32_e32 vcc, v16, v16
	s_nop 1
	v_cndmask_b32_sdwa v20, v1, v17, vcc dst_sel:DWORD dst_unused:UNUSED_PAD src0_sel:DWORD src1_sel:WORD_1
	v_lshl_add_u64 v[16:17], v[4:5], 1, s[20:21]
	global_store_short v[16:17], v20, off
	s_or_b64 exec, exec, s[40:41]
	s_and_saveexec_b64 s[40:41], s[10:11]
	s_cbranch_execz .LBB7_30
.LBB7_34:                               ;   in Loop: Header=BB7_11 Depth=1
	v_cndmask_b32_e64 v16, v22, -v22, s[14:15]
	v_fma_f32 v17, v18, v13, v16
	v_cndmask_b32_e64 v16, v16, v17, s[2:3]
	v_fma_f32 v16, -v12, v16, v18
	v_bfe_u32 v17, v16, 16, 1
	v_add3_u32 v17, v16, v17, s42
	v_cmp_o_f32_e32 vcc, v16, v16
	s_nop 1
	v_cndmask_b32_sdwa v18, v1, v17, vcc dst_sel:DWORD dst_unused:UNUSED_PAD src0_sel:DWORD src1_sel:WORD_1
	v_lshl_add_u64 v[16:17], v[6:7], 1, s[20:21]
	global_store_short v[16:17], v18, off
	s_or_b64 exec, exec, s[40:41]
	s_and_saveexec_b64 s[40:41], s[12:13]
	s_cbranch_execz .LBB7_31
.LBB7_35:                               ;   in Loop: Header=BB7_11 Depth=1
	v_cndmask_b32_e64 v16, v23, -v23, s[14:15]
	v_fma_f32 v17, v19, v13, v16
	v_cndmask_b32_e64 v16, v16, v17, s[2:3]
	v_fma_f32 v16, -v12, v16, v19
	v_bfe_u32 v17, v16, 16, 1
	v_add3_u32 v17, v16, v17, s42
	v_cmp_o_f32_e32 vcc, v16, v16
	s_nop 1
	v_cndmask_b32_sdwa v18, v1, v17, vcc dst_sel:DWORD dst_unused:UNUSED_PAD src0_sel:DWORD src1_sel:WORD_1
	v_lshl_add_u64 v[16:17], v[8:9], 1, s[20:21]
	global_store_short v[16:17], v18, off
	s_or_b64 exec, exec, s[40:41]
	s_and_b64 vcc, exec, s[4:5]
	s_cbranch_vccnz .LBB7_10
.LBB7_36:                               ;   in Loop: Header=BB7_11 Depth=1
	s_and_saveexec_b64 s[40:41], s[6:7]
	s_cbranch_execnz .LBB7_40
; %bb.37:                               ;   in Loop: Header=BB7_11 Depth=1
	s_or_b64 exec, exec, s[40:41]
	s_and_saveexec_b64 s[6:7], s[8:9]
	s_cbranch_execnz .LBB7_41
.LBB7_38:                               ;   in Loop: Header=BB7_11 Depth=1
	s_or_b64 exec, exec, s[6:7]
	s_and_saveexec_b64 s[6:7], s[10:11]
	s_cbranch_execnz .LBB7_42
.LBB7_39:                               ;   in Loop: Header=BB7_11 Depth=1
	s_or_b64 exec, exec, s[6:7]
	s_and_saveexec_b64 s[6:7], s[12:13]
	s_cbranch_execz .LBB7_9
	s_branch .LBB7_43
.LBB7_40:                               ;   in Loop: Header=BB7_11 Depth=1
	v_lshl_add_u64 v[16:17], v[2:3], 1, s[22:23]
	global_store_short v[16:17], v10, off
	s_or_b64 exec, exec, s[40:41]
	s_and_saveexec_b64 s[6:7], s[8:9]
	s_cbranch_execz .LBB7_38
.LBB7_41:                               ;   in Loop: Header=BB7_11 Depth=1
	v_lshl_add_u64 v[4:5], v[4:5], 1, s[22:23]
	global_store_short v[4:5], v14, off
	s_or_b64 exec, exec, s[6:7]
	s_and_saveexec_b64 s[6:7], s[10:11]
	s_cbranch_execz .LBB7_39
.LBB7_42:                               ;   in Loop: Header=BB7_11 Depth=1
	v_lshl_add_u64 v[4:5], v[6:7], 1, s[22:23]
	global_store_short v[4:5], v11, off
	s_or_b64 exec, exec, s[6:7]
	s_and_saveexec_b64 s[6:7], s[12:13]
	s_cbranch_execz .LBB7_9
.LBB7_43:                               ;   in Loop: Header=BB7_11 Depth=1
	v_lshl_add_u64 v[4:5], v[8:9], 1, s[22:23]
	global_store_short v[4:5], v15, off
	s_branch .LBB7_9
.LBB7_44:
	s_mov_b64 s[2:3], 0
.LBB7_45:
	s_andn2_b64 vcc, exec, s[2:3]
	s_cbranch_vccnz .LBB7_59
; %bb.46:
	v_mov_b32_e32 v3, 0
	v_lshlrev_b32_e32 v2, 2, v0
	v_cmp_gt_i64_e32 vcc, s[18:19], v[2:3]
	s_and_saveexec_b64 s[2:3], vcc
	s_cbranch_execz .LBB7_59
; %bb.47:
	s_load_dword s4, s[0:1], 0xc9c
	s_cmp_lg_u64 s[16:17], 0
	s_cselect_b64 s[2:3], -1, 0
	v_cndmask_b32_e64 v4, 0, 1, s[2:3]
	v_mov_b32_e32 v1, v3
	s_waitcnt lgkmcnt(0)
	s_and_b32 s10, s4, 0xffff
	v_add_lshl_u32 v2, v0, s10, 2
	s_mov_b64 s[6:7], 0
	s_mov_b32 s9, 0
	v_cmp_neq_f32_e64 s[0:1], 0, v13
	v_add_u32_e32 v14, s10, v0
	s_lshl_b32 s8, s10, 2
	v_cmp_ne_u32_e64 s[2:3], 1, v4
	s_movk_i32 s11, 0x7fff
	s_movk_i32 s12, 0x3fff
	v_mov_b32_e32 v15, 0x7fc0
	v_mov_b32_e32 v16, 0x7fc00000
	v_mov_b64_e32 v[4:5], v[2:3]
	v_mov_b32_e32 v2, v0
	s_branch .LBB7_49
.LBB7_48:                               ;   in Loop: Header=BB7_49 Depth=1
	v_cmp_le_u64_e32 vcc, s[18:19], v[4:5]
	v_cmp_lt_u32_e64 s[4:5], s12, v14
	s_or_b64 s[4:5], vcc, s[4:5]
	v_add_u32_e32 v2, s10, v2
	s_and_b64 s[4:5], exec, s[4:5]
	v_add_u32_e32 v14, s10, v14
	v_lshl_add_u64 v[4:5], v[4:5], 0, s[8:9]
	s_or_b64 s[6:7], s[4:5], s[6:7]
	v_mov_b64_e32 v[0:1], v[2:3]
	s_andn2_b64 exec, exec, s[6:7]
	s_cbranch_execz .LBB7_59
.LBB7_49:                               ; =>This Inner Loop Header: Depth=1
	v_lshlrev_b64 v[0:1], 3, v[0:1]
	v_lshl_add_u64 v[8:9], s[20:21], 0, v[0:1]
	v_lshl_add_u64 v[0:1], s[22:23], 0, v[0:1]
	global_load_dwordx2 v[6:7], v[0:1], off
	global_load_dwordx2 v[10:11], v[8:9], off
	s_and_b64 vcc, exec, s[2:3]
	s_waitcnt vmcnt(1)
	v_lshlrev_b32_e32 v17, 16, v6
	s_cbranch_vccnz .LBB7_51
; %bb.50:                               ;   in Loop: Header=BB7_49 Depth=1
	global_load_dword v18, v3, s[16:17]
	v_and_b32_e32 v6, 0xffff0000, v6
	s_waitcnt vmcnt(0)
	v_div_scale_f32 v19, s[4:5], v18, v18, v17
	v_rcp_f32_e32 v20, v19
	v_div_scale_f32 v21, vcc, v17, v18, v17
	v_fma_f32 v22, -v19, v20, 1.0
	v_fmac_f32_e32 v20, v22, v20
	v_mul_f32_e32 v22, v21, v20
	v_fma_f32 v23, -v19, v22, v21
	v_fmac_f32_e32 v22, v23, v20
	v_fma_f32 v19, -v19, v22, v21
	v_div_fmas_f32 v19, v19, v20, v22
	v_div_fixup_f32 v17, v19, v18, v17
	v_bfe_u32 v18, v17, 16, 1
	v_cmp_o_f32_e32 vcc, v17, v17
	v_add3_u32 v18, v17, v18, s11
	s_nop 0
	v_cndmask_b32_sdwa v18, v15, v18, vcc dst_sel:DWORD dst_unused:UNUSED_PAD src0_sel:DWORD src1_sel:WORD_1
	v_or_b32_e32 v6, v18, v6
.LBB7_51:                               ;   in Loop: Header=BB7_49 Depth=1
	s_and_b64 vcc, exec, s[2:3]
	v_and_b32_e32 v18, 0xffff0000, v6
	s_cbranch_vccnz .LBB7_53
; %bb.52:                               ;   in Loop: Header=BB7_49 Depth=1
	global_load_dword v19, v3, s[16:17]
	s_waitcnt vmcnt(0)
	v_div_scale_f32 v20, s[4:5], v19, v19, v18
	v_rcp_f32_e32 v21, v20
	v_div_scale_f32 v22, vcc, v18, v19, v18
	v_fma_f32 v23, -v20, v21, 1.0
	v_fmac_f32_e32 v21, v23, v21
	v_mul_f32_e32 v23, v22, v21
	v_fma_f32 v24, -v20, v23, v22
	v_fmac_f32_e32 v23, v24, v21
	v_fma_f32 v20, -v20, v23, v22
	v_div_fmas_f32 v20, v20, v21, v23
	v_div_fixup_f32 v18, v20, v19, v18
	v_bfe_u32 v19, v18, 16, 1
	v_add3_u32 v19, v18, v19, s11
	v_and_b32_e32 v19, 0xffff0000, v19
	v_cmp_o_f32_e32 vcc, v18, v18
	s_nop 1
	v_cndmask_b32_e32 v19, v16, v19, vcc
	v_or_b32_sdwa v6, v19, v6 dst_sel:DWORD dst_unused:UNUSED_PAD src0_sel:DWORD src1_sel:WORD_0
.LBB7_53:                               ;   in Loop: Header=BB7_49 Depth=1
	v_alignbit_b32 v19, v7, v6, 16
	s_and_b64 vcc, exec, s[2:3]
	v_and_b32_e32 v19, 0xffff0000, v19
	s_cbranch_vccnz .LBB7_55
; %bb.54:                               ;   in Loop: Header=BB7_49 Depth=1
	global_load_dword v20, v3, s[16:17]
	v_and_b32_e32 v7, 0xffff0000, v7
	s_waitcnt vmcnt(0)
	v_div_scale_f32 v21, s[4:5], v20, v20, v19
	v_rcp_f32_e32 v22, v21
	v_div_scale_f32 v23, vcc, v19, v20, v19
	v_fma_f32 v24, -v21, v22, 1.0
	v_fmac_f32_e32 v22, v24, v22
	v_mul_f32_e32 v24, v23, v22
	v_fma_f32 v25, -v21, v24, v23
	v_fmac_f32_e32 v24, v25, v22
	v_fma_f32 v21, -v21, v24, v23
	v_div_fmas_f32 v21, v21, v22, v24
	v_div_fixup_f32 v19, v21, v20, v19
	v_bfe_u32 v20, v19, 16, 1
	v_cmp_o_f32_e32 vcc, v19, v19
	v_add3_u32 v20, v19, v20, s11
	s_nop 0
	v_cndmask_b32_sdwa v20, v15, v20, vcc dst_sel:DWORD dst_unused:UNUSED_PAD src0_sel:DWORD src1_sel:WORD_1
	v_or_b32_e32 v7, v20, v7
.LBB7_55:                               ;   in Loop: Header=BB7_49 Depth=1
	s_and_b64 vcc, exec, s[2:3]
	v_and_b32_e32 v20, 0xffff0000, v7
	s_cbranch_vccnz .LBB7_57
; %bb.56:                               ;   in Loop: Header=BB7_49 Depth=1
	global_load_dword v21, v3, s[16:17]
	s_waitcnt vmcnt(0)
	v_div_scale_f32 v22, s[4:5], v21, v21, v20
	v_rcp_f32_e32 v23, v22
	v_div_scale_f32 v24, vcc, v20, v21, v20
	v_fma_f32 v25, -v22, v23, 1.0
	v_fmac_f32_e32 v23, v25, v23
	v_mul_f32_e32 v25, v24, v23
	v_fma_f32 v26, -v22, v25, v24
	v_fmac_f32_e32 v25, v26, v23
	v_fma_f32 v22, -v22, v25, v24
	v_div_fmas_f32 v22, v22, v23, v25
	v_div_fixup_f32 v20, v22, v21, v20
	v_bfe_u32 v21, v20, 16, 1
	v_add3_u32 v21, v20, v21, s11
	v_and_b32_e32 v21, 0xffff0000, v21
	v_cmp_o_f32_e32 vcc, v20, v20
	s_nop 1
	v_cndmask_b32_e32 v21, v16, v21, vcc
	v_or_b32_sdwa v7, v21, v7 dst_sel:DWORD dst_unused:UNUSED_PAD src0_sel:DWORD src1_sel:WORD_0
.LBB7_57:                               ;   in Loop: Header=BB7_49 Depth=1
	s_waitcnt vmcnt(0)
	v_lshlrev_b32_e32 v21, 16, v10
	v_cndmask_b32_e64 v17, v17, -v17, s[14:15]
	v_fma_f32 v22, v13, v21, v17
	v_cndmask_b32_e64 v17, v17, v22, s[0:1]
	v_fma_f32 v17, -v12, v17, v21
	v_bfe_u32 v21, v17, 16, 1
	v_add3_u32 v21, v17, v21, s11
	v_lshrrev_b32_e32 v21, 16, v21
	v_cmp_o_f32_e32 vcc, v17, v17
	v_cndmask_b32_e64 v18, v18, -v18, s[14:15]
	s_nop 0
	v_cndmask_b32_e32 v17, v15, v21, vcc
	v_and_b32_e32 v21, 0xffff0000, v10
	v_fma_f32 v22, v13, v21, v18
	v_cndmask_b32_e64 v18, v18, v22, s[0:1]
	v_fma_f32 v18, -v12, v18, v21
	v_bfe_u32 v21, v18, 16, 1
	v_add3_u32 v21, v18, v21, s11
	v_and_b32_e32 v21, 0xffff0000, v21
	v_cmp_o_f32_e32 vcc, v18, v18
	v_alignbit_b32 v10, v11, v10, 16
	v_and_b32_e32 v10, 0xffff0000, v10
	v_cndmask_b32_e32 v18, v16, v21, vcc
	v_or_b32_e32 v17, v18, v17
	v_cndmask_b32_e64 v18, v19, -v19, s[14:15]
	v_fma_f32 v19, v13, v10, v18
	v_cndmask_b32_e64 v18, v18, v19, s[0:1]
	v_fma_f32 v10, -v12, v18, v10
	v_bfe_u32 v18, v10, 16, 1
	v_add3_u32 v18, v10, v18, s11
	v_lshrrev_b32_e32 v18, 16, v18
	v_cmp_o_f32_e32 vcc, v10, v10
	v_and_b32_e32 v11, 0xffff0000, v11
	s_nop 0
	v_cndmask_b32_e32 v10, v15, v18, vcc
	v_cndmask_b32_e64 v18, v20, -v20, s[14:15]
	v_fma_f32 v19, v13, v11, v18
	v_cndmask_b32_e64 v18, v18, v19, s[0:1]
	v_fma_f32 v11, -v12, v18, v11
	v_bfe_u32 v18, v11, 16, 1
	v_add3_u32 v18, v11, v18, s11
	v_and_b32_e32 v18, 0xffff0000, v18
	v_cmp_o_f32_e32 vcc, v11, v11
	s_nop 1
	v_cndmask_b32_e32 v11, v16, v18, vcc
	v_or3_b32 v11, 0, v10, v11
	v_or3_b32 v10, v17, 0, 0
	s_and_b64 vcc, exec, s[2:3]
	global_store_dwordx2 v[8:9], v[10:11], off
	s_cbranch_vccnz .LBB7_48
; %bb.58:                               ;   in Loop: Header=BB7_49 Depth=1
	global_store_dwordx2 v[0:1], v[6:7], off
	s_branch .LBB7_48
.LBB7_59:
	s_endpgm
.LBB7_60:
                                        ; implicit-def: $sgpr4
	s_load_dword s2, s[2:3], 0x740
	v_mov_b32_e32 v12, s4
	s_branch .LBB7_5
	.section	.rodata,"a",@progbits
	.p2align	6, 0x0
	.amdhsa_kernel _ZN2at6native12_GLOBAL__N_125multi_tensor_apply_kernelINS1_18TensorListMetadataILi2EEENS1_19FusedSgdMathFunctorIN3c108BFloat16ELi2EEEJddPfddbbbS9_S9_EEEvT_T0_DpT1_
		.amdhsa_group_segment_fixed_size 0
		.amdhsa_private_segment_fixed_size 0
		.amdhsa_kernarg_size 3472
		.amdhsa_user_sgpr_count 2
		.amdhsa_user_sgpr_dispatch_ptr 0
		.amdhsa_user_sgpr_queue_ptr 0
		.amdhsa_user_sgpr_kernarg_segment_ptr 1
		.amdhsa_user_sgpr_dispatch_id 0
		.amdhsa_user_sgpr_kernarg_preload_length 0
		.amdhsa_user_sgpr_kernarg_preload_offset 0
		.amdhsa_user_sgpr_private_segment_size 0
		.amdhsa_uses_dynamic_stack 0
		.amdhsa_enable_private_segment 0
		.amdhsa_system_sgpr_workgroup_id_x 1
		.amdhsa_system_sgpr_workgroup_id_y 0
		.amdhsa_system_sgpr_workgroup_id_z 0
		.amdhsa_system_sgpr_workgroup_info 0
		.amdhsa_system_vgpr_workitem_id 0
		.amdhsa_next_free_vgpr 28
		.amdhsa_next_free_sgpr 43
		.amdhsa_accum_offset 28
		.amdhsa_reserve_vcc 1
		.amdhsa_float_round_mode_32 0
		.amdhsa_float_round_mode_16_64 0
		.amdhsa_float_denorm_mode_32 3
		.amdhsa_float_denorm_mode_16_64 3
		.amdhsa_dx10_clamp 1
		.amdhsa_ieee_mode 1
		.amdhsa_fp16_overflow 0
		.amdhsa_tg_split 0
		.amdhsa_exception_fp_ieee_invalid_op 0
		.amdhsa_exception_fp_denorm_src 0
		.amdhsa_exception_fp_ieee_div_zero 0
		.amdhsa_exception_fp_ieee_overflow 0
		.amdhsa_exception_fp_ieee_underflow 0
		.amdhsa_exception_fp_ieee_inexact 0
		.amdhsa_exception_int_div_zero 0
	.end_amdhsa_kernel
	.section	.text._ZN2at6native12_GLOBAL__N_125multi_tensor_apply_kernelINS1_18TensorListMetadataILi2EEENS1_19FusedSgdMathFunctorIN3c108BFloat16ELi2EEEJddPfddbbbS9_S9_EEEvT_T0_DpT1_,"axG",@progbits,_ZN2at6native12_GLOBAL__N_125multi_tensor_apply_kernelINS1_18TensorListMetadataILi2EEENS1_19FusedSgdMathFunctorIN3c108BFloat16ELi2EEEJddPfddbbbS9_S9_EEEvT_T0_DpT1_,comdat
.Lfunc_end7:
	.size	_ZN2at6native12_GLOBAL__N_125multi_tensor_apply_kernelINS1_18TensorListMetadataILi2EEENS1_19FusedSgdMathFunctorIN3c108BFloat16ELi2EEEJddPfddbbbS9_S9_EEEvT_T0_DpT1_, .Lfunc_end7-_ZN2at6native12_GLOBAL__N_125multi_tensor_apply_kernelINS1_18TensorListMetadataILi2EEENS1_19FusedSgdMathFunctorIN3c108BFloat16ELi2EEEJddPfddbbbS9_S9_EEEvT_T0_DpT1_
                                        ; -- End function
	.set _ZN2at6native12_GLOBAL__N_125multi_tensor_apply_kernelINS1_18TensorListMetadataILi2EEENS1_19FusedSgdMathFunctorIN3c108BFloat16ELi2EEEJddPfddbbbS9_S9_EEEvT_T0_DpT1_.num_vgpr, 28
	.set _ZN2at6native12_GLOBAL__N_125multi_tensor_apply_kernelINS1_18TensorListMetadataILi2EEENS1_19FusedSgdMathFunctorIN3c108BFloat16ELi2EEEJddPfddbbbS9_S9_EEEvT_T0_DpT1_.num_agpr, 0
	.set _ZN2at6native12_GLOBAL__N_125multi_tensor_apply_kernelINS1_18TensorListMetadataILi2EEENS1_19FusedSgdMathFunctorIN3c108BFloat16ELi2EEEJddPfddbbbS9_S9_EEEvT_T0_DpT1_.numbered_sgpr, 43
	.set _ZN2at6native12_GLOBAL__N_125multi_tensor_apply_kernelINS1_18TensorListMetadataILi2EEENS1_19FusedSgdMathFunctorIN3c108BFloat16ELi2EEEJddPfddbbbS9_S9_EEEvT_T0_DpT1_.num_named_barrier, 0
	.set _ZN2at6native12_GLOBAL__N_125multi_tensor_apply_kernelINS1_18TensorListMetadataILi2EEENS1_19FusedSgdMathFunctorIN3c108BFloat16ELi2EEEJddPfddbbbS9_S9_EEEvT_T0_DpT1_.private_seg_size, 0
	.set _ZN2at6native12_GLOBAL__N_125multi_tensor_apply_kernelINS1_18TensorListMetadataILi2EEENS1_19FusedSgdMathFunctorIN3c108BFloat16ELi2EEEJddPfddbbbS9_S9_EEEvT_T0_DpT1_.uses_vcc, 1
	.set _ZN2at6native12_GLOBAL__N_125multi_tensor_apply_kernelINS1_18TensorListMetadataILi2EEENS1_19FusedSgdMathFunctorIN3c108BFloat16ELi2EEEJddPfddbbbS9_S9_EEEvT_T0_DpT1_.uses_flat_scratch, 0
	.set _ZN2at6native12_GLOBAL__N_125multi_tensor_apply_kernelINS1_18TensorListMetadataILi2EEENS1_19FusedSgdMathFunctorIN3c108BFloat16ELi2EEEJddPfddbbbS9_S9_EEEvT_T0_DpT1_.has_dyn_sized_stack, 0
	.set _ZN2at6native12_GLOBAL__N_125multi_tensor_apply_kernelINS1_18TensorListMetadataILi2EEENS1_19FusedSgdMathFunctorIN3c108BFloat16ELi2EEEJddPfddbbbS9_S9_EEEvT_T0_DpT1_.has_recursion, 0
	.set _ZN2at6native12_GLOBAL__N_125multi_tensor_apply_kernelINS1_18TensorListMetadataILi2EEENS1_19FusedSgdMathFunctorIN3c108BFloat16ELi2EEEJddPfddbbbS9_S9_EEEvT_T0_DpT1_.has_indirect_call, 0
	.section	.AMDGPU.csdata,"",@progbits
; Kernel info:
; codeLenInByte = 3128
; TotalNumSgprs: 49
; NumVgprs: 28
; NumAgprs: 0
; TotalNumVgprs: 28
; ScratchSize: 0
; MemoryBound: 0
; FloatMode: 240
; IeeeMode: 1
; LDSByteSize: 0 bytes/workgroup (compile time only)
; SGPRBlocks: 6
; VGPRBlocks: 3
; NumSGPRsForWavesPerEU: 49
; NumVGPRsForWavesPerEU: 28
; AccumOffset: 28
; Occupancy: 8
; WaveLimiterHint : 0
; COMPUTE_PGM_RSRC2:SCRATCH_EN: 0
; COMPUTE_PGM_RSRC2:USER_SGPR: 2
; COMPUTE_PGM_RSRC2:TRAP_HANDLER: 0
; COMPUTE_PGM_RSRC2:TGID_X_EN: 1
; COMPUTE_PGM_RSRC2:TGID_Y_EN: 0
; COMPUTE_PGM_RSRC2:TGID_Z_EN: 0
; COMPUTE_PGM_RSRC2:TIDIG_COMP_CNT: 0
; COMPUTE_PGM_RSRC3_GFX90A:ACCUM_OFFSET: 6
; COMPUTE_PGM_RSRC3_GFX90A:TG_SPLIT: 0
	.section	.AMDGPU.gpr_maximums,"",@progbits
	.set amdgpu.max_num_vgpr, 0
	.set amdgpu.max_num_agpr, 0
	.set amdgpu.max_num_sgpr, 0
	.section	.AMDGPU.csdata,"",@progbits
	.type	__hip_cuid_61dc60aa55e310aa,@object ; @__hip_cuid_61dc60aa55e310aa
	.section	.bss,"aw",@nobits
	.globl	__hip_cuid_61dc60aa55e310aa
__hip_cuid_61dc60aa55e310aa:
	.byte	0                               ; 0x0
	.size	__hip_cuid_61dc60aa55e310aa, 1

	.ident	"AMD clang version 22.0.0git (https://github.com/RadeonOpenCompute/llvm-project roc-7.2.4 26084 f58b06dce1f9c15707c5f808fd002e18c2accf7e)"
	.section	".note.GNU-stack","",@progbits
	.addrsig
	.addrsig_sym __hip_cuid_61dc60aa55e310aa
	.amdgpu_metadata
---
amdhsa.kernels:
  - .agpr_count:     0
    .args:
      - .offset:         0
        .size:           3144
        .value_kind:     by_value
      - .offset:         3144
        .size:           1
        .value_kind:     by_value
      - .offset:         3152
        .size:           8
        .value_kind:     by_value
      - .offset:         3160
        .size:           8
        .value_kind:     by_value
      - .address_space:  global
        .offset:         3168
        .size:           8
        .value_kind:     global_buffer
      - .offset:         3176
        .size:           8
        .value_kind:     by_value
      - .offset:         3184
        .size:           8
        .value_kind:     by_value
      - .offset:         3192
        .size:           1
        .value_kind:     by_value
      - .offset:         3193
        .size:           1
        .value_kind:     by_value
      - .offset:         3194
        .size:           1
        .value_kind:     by_value
      - .address_space:  global
        .offset:         3200
        .size:           8
        .value_kind:     global_buffer
      - .address_space:  global
        .offset:         3208
        .size:           8
        .value_kind:     global_buffer
      - .offset:         3216
        .size:           4
        .value_kind:     hidden_block_count_x
      - .offset:         3220
        .size:           4
        .value_kind:     hidden_block_count_y
      - .offset:         3224
        .size:           4
        .value_kind:     hidden_block_count_z
      - .offset:         3228
        .size:           2
        .value_kind:     hidden_group_size_x
      - .offset:         3230
        .size:           2
        .value_kind:     hidden_group_size_y
      - .offset:         3232
        .size:           2
        .value_kind:     hidden_group_size_z
      - .offset:         3234
        .size:           2
        .value_kind:     hidden_remainder_x
      - .offset:         3236
        .size:           2
        .value_kind:     hidden_remainder_y
      - .offset:         3238
        .size:           2
        .value_kind:     hidden_remainder_z
      - .offset:         3256
        .size:           8
        .value_kind:     hidden_global_offset_x
      - .offset:         3264
        .size:           8
        .value_kind:     hidden_global_offset_y
      - .offset:         3272
        .size:           8
        .value_kind:     hidden_global_offset_z
      - .offset:         3280
        .size:           2
        .value_kind:     hidden_grid_dims
    .group_segment_fixed_size: 0
    .kernarg_segment_align: 8
    .kernarg_segment_size: 3472
    .language:       OpenCL C
    .language_version:
      - 2
      - 0
    .max_flat_workgroup_size: 512
    .name:           _ZN2at6native12_GLOBAL__N_125multi_tensor_apply_kernelINS1_18TensorListMetadataILi3EEENS1_19FusedSgdMathFunctorIdLi3EEEJddPfddbbbS7_S7_EEEvT_T0_DpT1_
    .private_segment_fixed_size: 0
    .sgpr_count:     58
    .sgpr_spill_count: 0
    .symbol:         _ZN2at6native12_GLOBAL__N_125multi_tensor_apply_kernelINS1_18TensorListMetadataILi3EEENS1_19FusedSgdMathFunctorIdLi3EEEJddPfddbbbS7_S7_EEEvT_T0_DpT1_.kd
    .uniform_work_group_size: 1
    .uses_dynamic_stack: false
    .vgpr_count:     70
    .vgpr_spill_count: 0
    .wavefront_size: 64
  - .agpr_count:     0
    .args:
      - .offset:         0
        .size:           3144
        .value_kind:     by_value
      - .offset:         3144
        .size:           1
        .value_kind:     by_value
      - .offset:         3152
        .size:           8
        .value_kind:     by_value
      - .offset:         3160
        .size:           8
        .value_kind:     by_value
      - .address_space:  global
        .offset:         3168
        .size:           8
        .value_kind:     global_buffer
      - .offset:         3176
        .size:           8
        .value_kind:     by_value
      - .offset:         3184
        .size:           8
        .value_kind:     by_value
      - .offset:         3192
        .size:           1
        .value_kind:     by_value
      - .offset:         3193
        .size:           1
        .value_kind:     by_value
      - .offset:         3194
        .size:           1
        .value_kind:     by_value
      - .address_space:  global
        .offset:         3200
        .size:           8
        .value_kind:     global_buffer
      - .address_space:  global
        .offset:         3208
        .size:           8
        .value_kind:     global_buffer
      - .offset:         3216
        .size:           4
        .value_kind:     hidden_block_count_x
      - .offset:         3220
        .size:           4
        .value_kind:     hidden_block_count_y
      - .offset:         3224
        .size:           4
        .value_kind:     hidden_block_count_z
      - .offset:         3228
        .size:           2
        .value_kind:     hidden_group_size_x
      - .offset:         3230
        .size:           2
        .value_kind:     hidden_group_size_y
      - .offset:         3232
        .size:           2
        .value_kind:     hidden_group_size_z
      - .offset:         3234
        .size:           2
        .value_kind:     hidden_remainder_x
      - .offset:         3236
        .size:           2
        .value_kind:     hidden_remainder_y
      - .offset:         3238
        .size:           2
        .value_kind:     hidden_remainder_z
      - .offset:         3256
        .size:           8
        .value_kind:     hidden_global_offset_x
      - .offset:         3264
        .size:           8
        .value_kind:     hidden_global_offset_y
      - .offset:         3272
        .size:           8
        .value_kind:     hidden_global_offset_z
      - .offset:         3280
        .size:           2
        .value_kind:     hidden_grid_dims
    .group_segment_fixed_size: 0
    .kernarg_segment_align: 8
    .kernarg_segment_size: 3472
    .language:       OpenCL C
    .language_version:
      - 2
      - 0
    .max_flat_workgroup_size: 512
    .name:           _ZN2at6native12_GLOBAL__N_125multi_tensor_apply_kernelINS1_18TensorListMetadataILi3EEENS1_19FusedSgdMathFunctorIfLi3EEEJddPfddbbbS7_S7_EEEvT_T0_DpT1_
    .private_segment_fixed_size: 0
    .sgpr_count:     52
    .sgpr_spill_count: 0
    .symbol:         _ZN2at6native12_GLOBAL__N_125multi_tensor_apply_kernelINS1_18TensorListMetadataILi3EEENS1_19FusedSgdMathFunctorIfLi3EEEJddPfddbbbS7_S7_EEEvT_T0_DpT1_.kd
    .uniform_work_group_size: 1
    .uses_dynamic_stack: false
    .vgpr_count:     55
    .vgpr_spill_count: 0
    .wavefront_size: 64
  - .agpr_count:     0
    .args:
      - .offset:         0
        .size:           3144
        .value_kind:     by_value
      - .offset:         3144
        .size:           1
        .value_kind:     by_value
      - .offset:         3152
        .size:           8
        .value_kind:     by_value
      - .offset:         3160
        .size:           8
        .value_kind:     by_value
      - .address_space:  global
        .offset:         3168
        .size:           8
        .value_kind:     global_buffer
      - .offset:         3176
        .size:           8
        .value_kind:     by_value
      - .offset:         3184
        .size:           8
        .value_kind:     by_value
      - .offset:         3192
        .size:           1
        .value_kind:     by_value
      - .offset:         3193
        .size:           1
        .value_kind:     by_value
      - .offset:         3194
        .size:           1
        .value_kind:     by_value
      - .address_space:  global
        .offset:         3200
        .size:           8
        .value_kind:     global_buffer
      - .address_space:  global
        .offset:         3208
        .size:           8
        .value_kind:     global_buffer
      - .offset:         3216
        .size:           4
        .value_kind:     hidden_block_count_x
      - .offset:         3220
        .size:           4
        .value_kind:     hidden_block_count_y
      - .offset:         3224
        .size:           4
        .value_kind:     hidden_block_count_z
      - .offset:         3228
        .size:           2
        .value_kind:     hidden_group_size_x
      - .offset:         3230
        .size:           2
        .value_kind:     hidden_group_size_y
      - .offset:         3232
        .size:           2
        .value_kind:     hidden_group_size_z
      - .offset:         3234
        .size:           2
        .value_kind:     hidden_remainder_x
      - .offset:         3236
        .size:           2
        .value_kind:     hidden_remainder_y
      - .offset:         3238
        .size:           2
        .value_kind:     hidden_remainder_z
      - .offset:         3256
        .size:           8
        .value_kind:     hidden_global_offset_x
      - .offset:         3264
        .size:           8
        .value_kind:     hidden_global_offset_y
      - .offset:         3272
        .size:           8
        .value_kind:     hidden_global_offset_z
      - .offset:         3280
        .size:           2
        .value_kind:     hidden_grid_dims
    .group_segment_fixed_size: 0
    .kernarg_segment_align: 8
    .kernarg_segment_size: 3472
    .language:       OpenCL C
    .language_version:
      - 2
      - 0
    .max_flat_workgroup_size: 512
    .name:           _ZN2at6native12_GLOBAL__N_125multi_tensor_apply_kernelINS1_18TensorListMetadataILi3EEENS1_19FusedSgdMathFunctorIN3c104HalfELi3EEEJddPfddbbbS9_S9_EEEvT_T0_DpT1_
    .private_segment_fixed_size: 0
    .sgpr_count:     54
    .sgpr_spill_count: 0
    .symbol:         _ZN2at6native12_GLOBAL__N_125multi_tensor_apply_kernelINS1_18TensorListMetadataILi3EEENS1_19FusedSgdMathFunctorIN3c104HalfELi3EEEJddPfddbbbS9_S9_EEEvT_T0_DpT1_.kd
    .uniform_work_group_size: 1
    .uses_dynamic_stack: false
    .vgpr_count:     57
    .vgpr_spill_count: 0
    .wavefront_size: 64
  - .agpr_count:     0
    .args:
      - .offset:         0
        .size:           3144
        .value_kind:     by_value
      - .offset:         3144
        .size:           1
        .value_kind:     by_value
      - .offset:         3152
        .size:           8
        .value_kind:     by_value
      - .offset:         3160
        .size:           8
        .value_kind:     by_value
      - .address_space:  global
        .offset:         3168
        .size:           8
        .value_kind:     global_buffer
      - .offset:         3176
        .size:           8
        .value_kind:     by_value
      - .offset:         3184
        .size:           8
        .value_kind:     by_value
      - .offset:         3192
        .size:           1
        .value_kind:     by_value
      - .offset:         3193
        .size:           1
        .value_kind:     by_value
      - .offset:         3194
        .size:           1
        .value_kind:     by_value
      - .address_space:  global
        .offset:         3200
        .size:           8
        .value_kind:     global_buffer
      - .address_space:  global
        .offset:         3208
        .size:           8
        .value_kind:     global_buffer
      - .offset:         3216
        .size:           4
        .value_kind:     hidden_block_count_x
      - .offset:         3220
        .size:           4
        .value_kind:     hidden_block_count_y
      - .offset:         3224
        .size:           4
        .value_kind:     hidden_block_count_z
      - .offset:         3228
        .size:           2
        .value_kind:     hidden_group_size_x
      - .offset:         3230
        .size:           2
        .value_kind:     hidden_group_size_y
      - .offset:         3232
        .size:           2
        .value_kind:     hidden_group_size_z
      - .offset:         3234
        .size:           2
        .value_kind:     hidden_remainder_x
      - .offset:         3236
        .size:           2
        .value_kind:     hidden_remainder_y
      - .offset:         3238
        .size:           2
        .value_kind:     hidden_remainder_z
      - .offset:         3256
        .size:           8
        .value_kind:     hidden_global_offset_x
      - .offset:         3264
        .size:           8
        .value_kind:     hidden_global_offset_y
      - .offset:         3272
        .size:           8
        .value_kind:     hidden_global_offset_z
      - .offset:         3280
        .size:           2
        .value_kind:     hidden_grid_dims
    .group_segment_fixed_size: 0
    .kernarg_segment_align: 8
    .kernarg_segment_size: 3472
    .language:       OpenCL C
    .language_version:
      - 2
      - 0
    .max_flat_workgroup_size: 512
    .name:           _ZN2at6native12_GLOBAL__N_125multi_tensor_apply_kernelINS1_18TensorListMetadataILi3EEENS1_19FusedSgdMathFunctorIN3c108BFloat16ELi3EEEJddPfddbbbS9_S9_EEEvT_T0_DpT1_
    .private_segment_fixed_size: 0
    .sgpr_count:     54
    .sgpr_spill_count: 0
    .symbol:         _ZN2at6native12_GLOBAL__N_125multi_tensor_apply_kernelINS1_18TensorListMetadataILi3EEENS1_19FusedSgdMathFunctorIN3c108BFloat16ELi3EEEJddPfddbbbS9_S9_EEEvT_T0_DpT1_.kd
    .uniform_work_group_size: 1
    .uses_dynamic_stack: false
    .vgpr_count:     56
    .vgpr_spill_count: 0
    .wavefront_size: 64
  - .agpr_count:     0
    .args:
      - .offset:         0
        .size:           3144
        .value_kind:     by_value
      - .offset:         3144
        .size:           1
        .value_kind:     by_value
      - .offset:         3152
        .size:           8
        .value_kind:     by_value
      - .offset:         3160
        .size:           8
        .value_kind:     by_value
      - .address_space:  global
        .offset:         3168
        .size:           8
        .value_kind:     global_buffer
      - .offset:         3176
        .size:           8
        .value_kind:     by_value
      - .offset:         3184
        .size:           8
        .value_kind:     by_value
      - .offset:         3192
        .size:           1
        .value_kind:     by_value
      - .offset:         3193
        .size:           1
        .value_kind:     by_value
      - .offset:         3194
        .size:           1
        .value_kind:     by_value
      - .address_space:  global
        .offset:         3200
        .size:           8
        .value_kind:     global_buffer
      - .address_space:  global
        .offset:         3208
        .size:           8
        .value_kind:     global_buffer
      - .offset:         3216
        .size:           4
        .value_kind:     hidden_block_count_x
      - .offset:         3220
        .size:           4
        .value_kind:     hidden_block_count_y
      - .offset:         3224
        .size:           4
        .value_kind:     hidden_block_count_z
      - .offset:         3228
        .size:           2
        .value_kind:     hidden_group_size_x
      - .offset:         3230
        .size:           2
        .value_kind:     hidden_group_size_y
      - .offset:         3232
        .size:           2
        .value_kind:     hidden_group_size_z
      - .offset:         3234
        .size:           2
        .value_kind:     hidden_remainder_x
      - .offset:         3236
        .size:           2
        .value_kind:     hidden_remainder_y
      - .offset:         3238
        .size:           2
        .value_kind:     hidden_remainder_z
      - .offset:         3256
        .size:           8
        .value_kind:     hidden_global_offset_x
      - .offset:         3264
        .size:           8
        .value_kind:     hidden_global_offset_y
      - .offset:         3272
        .size:           8
        .value_kind:     hidden_global_offset_z
      - .offset:         3280
        .size:           2
        .value_kind:     hidden_grid_dims
    .group_segment_fixed_size: 0
    .kernarg_segment_align: 8
    .kernarg_segment_size: 3472
    .language:       OpenCL C
    .language_version:
      - 2
      - 0
    .max_flat_workgroup_size: 512
    .name:           _ZN2at6native12_GLOBAL__N_125multi_tensor_apply_kernelINS1_18TensorListMetadataILi2EEENS1_19FusedSgdMathFunctorIdLi2EEEJddPfddbbbS7_S7_EEEvT_T0_DpT1_
    .private_segment_fixed_size: 0
    .sgpr_count:     46
    .sgpr_spill_count: 0
    .symbol:         _ZN2at6native12_GLOBAL__N_125multi_tensor_apply_kernelINS1_18TensorListMetadataILi2EEENS1_19FusedSgdMathFunctorIdLi2EEEJddPfddbbbS7_S7_EEEvT_T0_DpT1_.kd
    .uniform_work_group_size: 1
    .uses_dynamic_stack: false
    .vgpr_count:     52
    .vgpr_spill_count: 0
    .wavefront_size: 64
  - .agpr_count:     0
    .args:
      - .offset:         0
        .size:           3144
        .value_kind:     by_value
      - .offset:         3144
        .size:           1
        .value_kind:     by_value
      - .offset:         3152
        .size:           8
        .value_kind:     by_value
      - .offset:         3160
        .size:           8
        .value_kind:     by_value
      - .address_space:  global
        .offset:         3168
        .size:           8
        .value_kind:     global_buffer
      - .offset:         3176
        .size:           8
        .value_kind:     by_value
      - .offset:         3184
        .size:           8
        .value_kind:     by_value
      - .offset:         3192
        .size:           1
        .value_kind:     by_value
      - .offset:         3193
        .size:           1
        .value_kind:     by_value
      - .offset:         3194
        .size:           1
        .value_kind:     by_value
      - .address_space:  global
        .offset:         3200
        .size:           8
        .value_kind:     global_buffer
      - .address_space:  global
        .offset:         3208
        .size:           8
        .value_kind:     global_buffer
      - .offset:         3216
        .size:           4
        .value_kind:     hidden_block_count_x
      - .offset:         3220
        .size:           4
        .value_kind:     hidden_block_count_y
      - .offset:         3224
        .size:           4
        .value_kind:     hidden_block_count_z
      - .offset:         3228
        .size:           2
        .value_kind:     hidden_group_size_x
      - .offset:         3230
        .size:           2
        .value_kind:     hidden_group_size_y
      - .offset:         3232
        .size:           2
        .value_kind:     hidden_group_size_z
      - .offset:         3234
        .size:           2
        .value_kind:     hidden_remainder_x
      - .offset:         3236
        .size:           2
        .value_kind:     hidden_remainder_y
      - .offset:         3238
        .size:           2
        .value_kind:     hidden_remainder_z
      - .offset:         3256
        .size:           8
        .value_kind:     hidden_global_offset_x
      - .offset:         3264
        .size:           8
        .value_kind:     hidden_global_offset_y
      - .offset:         3272
        .size:           8
        .value_kind:     hidden_global_offset_z
      - .offset:         3280
        .size:           2
        .value_kind:     hidden_grid_dims
    .group_segment_fixed_size: 0
    .kernarg_segment_align: 8
    .kernarg_segment_size: 3472
    .language:       OpenCL C
    .language_version:
      - 2
      - 0
    .max_flat_workgroup_size: 512
    .name:           _ZN2at6native12_GLOBAL__N_125multi_tensor_apply_kernelINS1_18TensorListMetadataILi2EEENS1_19FusedSgdMathFunctorIfLi2EEEJddPfddbbbS7_S7_EEEvT_T0_DpT1_
    .private_segment_fixed_size: 0
    .sgpr_count:     44
    .sgpr_spill_count: 0
    .symbol:         _ZN2at6native12_GLOBAL__N_125multi_tensor_apply_kernelINS1_18TensorListMetadataILi2EEENS1_19FusedSgdMathFunctorIfLi2EEEJddPfddbbbS7_S7_EEEvT_T0_DpT1_.kd
    .uniform_work_group_size: 1
    .uses_dynamic_stack: false
    .vgpr_count:     40
    .vgpr_spill_count: 0
    .wavefront_size: 64
  - .agpr_count:     0
    .args:
      - .offset:         0
        .size:           3144
        .value_kind:     by_value
      - .offset:         3144
        .size:           1
        .value_kind:     by_value
      - .offset:         3152
        .size:           8
        .value_kind:     by_value
      - .offset:         3160
        .size:           8
        .value_kind:     by_value
      - .address_space:  global
        .offset:         3168
        .size:           8
        .value_kind:     global_buffer
      - .offset:         3176
        .size:           8
        .value_kind:     by_value
      - .offset:         3184
        .size:           8
        .value_kind:     by_value
      - .offset:         3192
        .size:           1
        .value_kind:     by_value
      - .offset:         3193
        .size:           1
        .value_kind:     by_value
      - .offset:         3194
        .size:           1
        .value_kind:     by_value
      - .address_space:  global
        .offset:         3200
        .size:           8
        .value_kind:     global_buffer
      - .address_space:  global
        .offset:         3208
        .size:           8
        .value_kind:     global_buffer
      - .offset:         3216
        .size:           4
        .value_kind:     hidden_block_count_x
      - .offset:         3220
        .size:           4
        .value_kind:     hidden_block_count_y
      - .offset:         3224
        .size:           4
        .value_kind:     hidden_block_count_z
      - .offset:         3228
        .size:           2
        .value_kind:     hidden_group_size_x
      - .offset:         3230
        .size:           2
        .value_kind:     hidden_group_size_y
      - .offset:         3232
        .size:           2
        .value_kind:     hidden_group_size_z
      - .offset:         3234
        .size:           2
        .value_kind:     hidden_remainder_x
      - .offset:         3236
        .size:           2
        .value_kind:     hidden_remainder_y
      - .offset:         3238
        .size:           2
        .value_kind:     hidden_remainder_z
      - .offset:         3256
        .size:           8
        .value_kind:     hidden_global_offset_x
      - .offset:         3264
        .size:           8
        .value_kind:     hidden_global_offset_y
      - .offset:         3272
        .size:           8
        .value_kind:     hidden_global_offset_z
      - .offset:         3280
        .size:           2
        .value_kind:     hidden_grid_dims
    .group_segment_fixed_size: 0
    .kernarg_segment_align: 8
    .kernarg_segment_size: 3472
    .language:       OpenCL C
    .language_version:
      - 2
      - 0
    .max_flat_workgroup_size: 512
    .name:           _ZN2at6native12_GLOBAL__N_125multi_tensor_apply_kernelINS1_18TensorListMetadataILi2EEENS1_19FusedSgdMathFunctorIN3c104HalfELi2EEEJddPfddbbbS9_S9_EEEvT_T0_DpT1_
    .private_segment_fixed_size: 0
    .sgpr_count:     46
    .sgpr_spill_count: 0
    .symbol:         _ZN2at6native12_GLOBAL__N_125multi_tensor_apply_kernelINS1_18TensorListMetadataILi2EEENS1_19FusedSgdMathFunctorIN3c104HalfELi2EEEJddPfddbbbS9_S9_EEEvT_T0_DpT1_.kd
    .uniform_work_group_size: 1
    .uses_dynamic_stack: false
    .vgpr_count:     42
    .vgpr_spill_count: 0
    .wavefront_size: 64
  - .agpr_count:     0
    .args:
      - .offset:         0
        .size:           3144
        .value_kind:     by_value
      - .offset:         3144
        .size:           1
        .value_kind:     by_value
      - .offset:         3152
        .size:           8
        .value_kind:     by_value
      - .offset:         3160
        .size:           8
        .value_kind:     by_value
      - .address_space:  global
        .offset:         3168
        .size:           8
        .value_kind:     global_buffer
      - .offset:         3176
        .size:           8
        .value_kind:     by_value
      - .offset:         3184
        .size:           8
        .value_kind:     by_value
      - .offset:         3192
        .size:           1
        .value_kind:     by_value
      - .offset:         3193
        .size:           1
        .value_kind:     by_value
      - .offset:         3194
        .size:           1
        .value_kind:     by_value
      - .address_space:  global
        .offset:         3200
        .size:           8
        .value_kind:     global_buffer
      - .address_space:  global
        .offset:         3208
        .size:           8
        .value_kind:     global_buffer
      - .offset:         3216
        .size:           4
        .value_kind:     hidden_block_count_x
      - .offset:         3220
        .size:           4
        .value_kind:     hidden_block_count_y
      - .offset:         3224
        .size:           4
        .value_kind:     hidden_block_count_z
      - .offset:         3228
        .size:           2
        .value_kind:     hidden_group_size_x
      - .offset:         3230
        .size:           2
        .value_kind:     hidden_group_size_y
      - .offset:         3232
        .size:           2
        .value_kind:     hidden_group_size_z
      - .offset:         3234
        .size:           2
        .value_kind:     hidden_remainder_x
      - .offset:         3236
        .size:           2
        .value_kind:     hidden_remainder_y
      - .offset:         3238
        .size:           2
        .value_kind:     hidden_remainder_z
      - .offset:         3256
        .size:           8
        .value_kind:     hidden_global_offset_x
      - .offset:         3264
        .size:           8
        .value_kind:     hidden_global_offset_y
      - .offset:         3272
        .size:           8
        .value_kind:     hidden_global_offset_z
      - .offset:         3280
        .size:           2
        .value_kind:     hidden_grid_dims
    .group_segment_fixed_size: 0
    .kernarg_segment_align: 8
    .kernarg_segment_size: 3472
    .language:       OpenCL C
    .language_version:
      - 2
      - 0
    .max_flat_workgroup_size: 512
    .name:           _ZN2at6native12_GLOBAL__N_125multi_tensor_apply_kernelINS1_18TensorListMetadataILi2EEENS1_19FusedSgdMathFunctorIN3c108BFloat16ELi2EEEJddPfddbbbS9_S9_EEEvT_T0_DpT1_
    .private_segment_fixed_size: 0
    .sgpr_count:     49
    .sgpr_spill_count: 0
    .symbol:         _ZN2at6native12_GLOBAL__N_125multi_tensor_apply_kernelINS1_18TensorListMetadataILi2EEENS1_19FusedSgdMathFunctorIN3c108BFloat16ELi2EEEJddPfddbbbS9_S9_EEEvT_T0_DpT1_.kd
    .uniform_work_group_size: 1
    .uses_dynamic_stack: false
    .vgpr_count:     28
    .vgpr_spill_count: 0
    .wavefront_size: 64
amdhsa.target:   amdgcn-amd-amdhsa--gfx950
amdhsa.version:
  - 1
  - 2
...

	.end_amdgpu_metadata
